;; amdgpu-corpus repo=ROCm/rocFFT kind=compiled arch=gfx906 opt=O3
	.text
	.amdgcn_target "amdgcn-amd-amdhsa--gfx906"
	.amdhsa_code_object_version 6
	.protected	fft_rtc_fwd_len1352_factors_2_13_13_4_wgs_52_tpt_52_halfLds_sp_op_CI_CI_sbrr_dirReg ; -- Begin function fft_rtc_fwd_len1352_factors_2_13_13_4_wgs_52_tpt_52_halfLds_sp_op_CI_CI_sbrr_dirReg
	.globl	fft_rtc_fwd_len1352_factors_2_13_13_4_wgs_52_tpt_52_halfLds_sp_op_CI_CI_sbrr_dirReg
	.p2align	8
	.type	fft_rtc_fwd_len1352_factors_2_13_13_4_wgs_52_tpt_52_halfLds_sp_op_CI_CI_sbrr_dirReg,@function
fft_rtc_fwd_len1352_factors_2_13_13_4_wgs_52_tpt_52_halfLds_sp_op_CI_CI_sbrr_dirReg: ; @fft_rtc_fwd_len1352_factors_2_13_13_4_wgs_52_tpt_52_halfLds_sp_op_CI_CI_sbrr_dirReg
; %bb.0:
	s_load_dwordx4 s[16:19], s[4:5], 0x18
	s_load_dwordx4 s[8:11], s[4:5], 0x0
	;; [unrolled: 1-line block ×3, first 2 shown]
	v_mul_u32_u24_e32 v1, 0x4ed, v0
	v_mov_b32_e32 v7, 0
	s_waitcnt lgkmcnt(0)
	s_load_dwordx2 s[2:3], s[16:17], 0x0
	s_load_dwordx2 s[20:21], s[18:19], 0x0
	v_cmp_lt_u64_e64 s[0:1], s[10:11], 2
	v_mov_b32_e32 v5, 0
	v_add_u32_sdwa v9, s6, v1 dst_sel:DWORD dst_unused:UNUSED_PAD src0_sel:DWORD src1_sel:WORD_1
	v_mov_b32_e32 v10, v7
	s_and_b64 vcc, exec, s[0:1]
	v_mov_b32_e32 v6, 0
	s_cbranch_vccnz .LBB0_8
; %bb.1:
	s_load_dwordx2 s[0:1], s[4:5], 0x10
	s_add_u32 s6, s18, 8
	s_addc_u32 s7, s19, 0
	s_add_u32 s22, s16, 8
	s_addc_u32 s23, s17, 0
	v_mov_b32_e32 v5, 0
	s_waitcnt lgkmcnt(0)
	s_add_u32 s24, s0, 8
	v_mov_b32_e32 v6, 0
	v_mov_b32_e32 v1, v5
	s_addc_u32 s25, s1, 0
	s_mov_b64 s[26:27], 1
	v_mov_b32_e32 v2, v6
.LBB0_2:                                ; =>This Inner Loop Header: Depth=1
	s_load_dwordx2 s[28:29], s[24:25], 0x0
                                        ; implicit-def: $vgpr3_vgpr4
	s_waitcnt lgkmcnt(0)
	v_or_b32_e32 v8, s29, v10
	v_cmp_ne_u64_e32 vcc, 0, v[7:8]
	s_and_saveexec_b64 s[0:1], vcc
	s_xor_b64 s[30:31], exec, s[0:1]
	s_cbranch_execz .LBB0_4
; %bb.3:                                ;   in Loop: Header=BB0_2 Depth=1
	v_cvt_f32_u32_e32 v3, s28
	v_cvt_f32_u32_e32 v4, s29
	s_sub_u32 s0, 0, s28
	s_subb_u32 s1, 0, s29
	v_mac_f32_e32 v3, 0x4f800000, v4
	v_rcp_f32_e32 v3, v3
	v_mul_f32_e32 v3, 0x5f7ffffc, v3
	v_mul_f32_e32 v4, 0x2f800000, v3
	v_trunc_f32_e32 v4, v4
	v_mac_f32_e32 v3, 0xcf800000, v4
	v_cvt_u32_f32_e32 v4, v4
	v_cvt_u32_f32_e32 v3, v3
	v_mul_lo_u32 v8, s0, v4
	v_mul_hi_u32 v11, s0, v3
	v_mul_lo_u32 v13, s1, v3
	v_mul_lo_u32 v12, s0, v3
	v_add_u32_e32 v8, v11, v8
	v_add_u32_e32 v8, v8, v13
	v_mul_hi_u32 v11, v3, v12
	v_mul_lo_u32 v13, v3, v8
	v_mul_hi_u32 v15, v3, v8
	v_mul_hi_u32 v14, v4, v12
	v_mul_lo_u32 v12, v4, v12
	v_mul_hi_u32 v16, v4, v8
	v_add_co_u32_e32 v11, vcc, v11, v13
	v_addc_co_u32_e32 v13, vcc, 0, v15, vcc
	v_mul_lo_u32 v8, v4, v8
	v_add_co_u32_e32 v11, vcc, v11, v12
	v_addc_co_u32_e32 v11, vcc, v13, v14, vcc
	v_addc_co_u32_e32 v12, vcc, 0, v16, vcc
	v_add_co_u32_e32 v8, vcc, v11, v8
	v_addc_co_u32_e32 v11, vcc, 0, v12, vcc
	v_add_co_u32_e32 v3, vcc, v3, v8
	v_addc_co_u32_e32 v4, vcc, v4, v11, vcc
	v_mul_lo_u32 v8, s0, v4
	v_mul_hi_u32 v11, s0, v3
	v_mul_lo_u32 v12, s1, v3
	v_mul_lo_u32 v13, s0, v3
	v_add_u32_e32 v8, v11, v8
	v_add_u32_e32 v8, v8, v12
	v_mul_lo_u32 v14, v3, v8
	v_mul_hi_u32 v15, v3, v13
	v_mul_hi_u32 v16, v3, v8
	;; [unrolled: 1-line block ×3, first 2 shown]
	v_mul_lo_u32 v13, v4, v13
	v_mul_hi_u32 v11, v4, v8
	v_add_co_u32_e32 v14, vcc, v15, v14
	v_addc_co_u32_e32 v15, vcc, 0, v16, vcc
	v_mul_lo_u32 v8, v4, v8
	v_add_co_u32_e32 v13, vcc, v14, v13
	v_addc_co_u32_e32 v12, vcc, v15, v12, vcc
	v_addc_co_u32_e32 v11, vcc, 0, v11, vcc
	v_add_co_u32_e32 v8, vcc, v12, v8
	v_addc_co_u32_e32 v11, vcc, 0, v11, vcc
	v_add_co_u32_e32 v8, vcc, v3, v8
	v_addc_co_u32_e32 v11, vcc, v4, v11, vcc
	v_mad_u64_u32 v[3:4], s[0:1], v9, v11, 0
	v_mul_hi_u32 v12, v9, v8
	v_add_co_u32_e32 v13, vcc, v12, v3
	v_addc_co_u32_e32 v14, vcc, 0, v4, vcc
	v_mad_u64_u32 v[3:4], s[0:1], v10, v8, 0
	v_mad_u64_u32 v[11:12], s[0:1], v10, v11, 0
	v_add_co_u32_e32 v3, vcc, v13, v3
	v_addc_co_u32_e32 v3, vcc, v14, v4, vcc
	v_addc_co_u32_e32 v4, vcc, 0, v12, vcc
	v_add_co_u32_e32 v8, vcc, v3, v11
	v_addc_co_u32_e32 v11, vcc, 0, v4, vcc
	v_mul_lo_u32 v12, s29, v8
	v_mul_lo_u32 v13, s28, v11
	v_mad_u64_u32 v[3:4], s[0:1], s28, v8, 0
	v_add3_u32 v4, v4, v13, v12
	v_sub_u32_e32 v12, v10, v4
	v_mov_b32_e32 v13, s29
	v_sub_co_u32_e32 v3, vcc, v9, v3
	v_subb_co_u32_e64 v12, s[0:1], v12, v13, vcc
	v_subrev_co_u32_e64 v13, s[0:1], s28, v3
	v_subbrev_co_u32_e64 v12, s[0:1], 0, v12, s[0:1]
	v_cmp_le_u32_e64 s[0:1], s29, v12
	v_cndmask_b32_e64 v14, 0, -1, s[0:1]
	v_cmp_le_u32_e64 s[0:1], s28, v13
	v_cndmask_b32_e64 v13, 0, -1, s[0:1]
	v_cmp_eq_u32_e64 s[0:1], s29, v12
	v_cndmask_b32_e64 v12, v14, v13, s[0:1]
	v_add_co_u32_e64 v13, s[0:1], 2, v8
	v_addc_co_u32_e64 v14, s[0:1], 0, v11, s[0:1]
	v_add_co_u32_e64 v15, s[0:1], 1, v8
	v_addc_co_u32_e64 v16, s[0:1], 0, v11, s[0:1]
	v_subb_co_u32_e32 v4, vcc, v10, v4, vcc
	v_cmp_ne_u32_e64 s[0:1], 0, v12
	v_cmp_le_u32_e32 vcc, s29, v4
	v_cndmask_b32_e64 v12, v16, v14, s[0:1]
	v_cndmask_b32_e64 v14, 0, -1, vcc
	v_cmp_le_u32_e32 vcc, s28, v3
	v_cndmask_b32_e64 v3, 0, -1, vcc
	v_cmp_eq_u32_e32 vcc, s29, v4
	v_cndmask_b32_e32 v3, v14, v3, vcc
	v_cmp_ne_u32_e32 vcc, 0, v3
	v_cndmask_b32_e64 v3, v15, v13, s[0:1]
	v_cndmask_b32_e32 v4, v11, v12, vcc
	v_cndmask_b32_e32 v3, v8, v3, vcc
.LBB0_4:                                ;   in Loop: Header=BB0_2 Depth=1
	s_andn2_saveexec_b64 s[0:1], s[30:31]
	s_cbranch_execz .LBB0_6
; %bb.5:                                ;   in Loop: Header=BB0_2 Depth=1
	v_cvt_f32_u32_e32 v3, s28
	s_sub_i32 s30, 0, s28
	v_rcp_iflag_f32_e32 v3, v3
	v_mul_f32_e32 v3, 0x4f7ffffe, v3
	v_cvt_u32_f32_e32 v3, v3
	v_mul_lo_u32 v4, s30, v3
	v_mul_hi_u32 v4, v3, v4
	v_add_u32_e32 v3, v3, v4
	v_mul_hi_u32 v3, v9, v3
	v_mul_lo_u32 v4, v3, s28
	v_add_u32_e32 v8, 1, v3
	v_sub_u32_e32 v4, v9, v4
	v_subrev_u32_e32 v11, s28, v4
	v_cmp_le_u32_e32 vcc, s28, v4
	v_cndmask_b32_e32 v4, v4, v11, vcc
	v_cndmask_b32_e32 v3, v3, v8, vcc
	v_add_u32_e32 v8, 1, v3
	v_cmp_le_u32_e32 vcc, s28, v4
	v_cndmask_b32_e32 v3, v3, v8, vcc
	v_mov_b32_e32 v4, v7
.LBB0_6:                                ;   in Loop: Header=BB0_2 Depth=1
	s_or_b64 exec, exec, s[0:1]
	v_mul_lo_u32 v8, v4, s28
	v_mul_lo_u32 v13, v3, s29
	v_mad_u64_u32 v[11:12], s[0:1], v3, s28, 0
	s_load_dwordx2 s[0:1], s[22:23], 0x0
	s_load_dwordx2 s[28:29], s[6:7], 0x0
	v_add3_u32 v8, v12, v13, v8
	v_sub_co_u32_e32 v9, vcc, v9, v11
	v_subb_co_u32_e32 v8, vcc, v10, v8, vcc
	s_waitcnt lgkmcnt(0)
	v_mul_lo_u32 v10, s0, v8
	v_mul_lo_u32 v11, s1, v9
	v_mad_u64_u32 v[5:6], s[0:1], s0, v9, v[5:6]
	v_mul_lo_u32 v8, s28, v8
	v_mul_lo_u32 v12, s29, v9
	v_mad_u64_u32 v[1:2], s[0:1], s28, v9, v[1:2]
	s_add_u32 s26, s26, 1
	s_addc_u32 s27, s27, 0
	s_add_u32 s6, s6, 8
	v_add3_u32 v2, v12, v2, v8
	s_addc_u32 s7, s7, 0
	v_mov_b32_e32 v8, s10
	s_add_u32 s22, s22, 8
	v_mov_b32_e32 v9, s11
	s_addc_u32 s23, s23, 0
	v_cmp_ge_u64_e32 vcc, s[26:27], v[8:9]
	s_add_u32 s24, s24, 8
	v_add3_u32 v6, v11, v6, v10
	s_addc_u32 s25, s25, 0
	s_cbranch_vccnz .LBB0_9
; %bb.7:                                ;   in Loop: Header=BB0_2 Depth=1
	v_mov_b32_e32 v10, v4
	v_mov_b32_e32 v9, v3
	s_branch .LBB0_2
.LBB0_8:
	v_mov_b32_e32 v1, v5
	v_mov_b32_e32 v3, v9
	;; [unrolled: 1-line block ×4, first 2 shown]
.LBB0_9:
	s_load_dwordx2 s[0:1], s[4:5], 0x28
	s_lshl_b64 s[10:11], s[10:11], 3
	s_add_u32 s4, s18, s10
	s_addc_u32 s5, s19, s11
                                        ; implicit-def: $sgpr18_sgpr19
                                        ; implicit-def: $vgpr58
                                        ; implicit-def: $vgpr59
                                        ; implicit-def: $vgpr60
                                        ; implicit-def: $vgpr61
                                        ; implicit-def: $vgpr62
                                        ; implicit-def: $vgpr63
                                        ; implicit-def: $vgpr64
                                        ; implicit-def: $vgpr65
                                        ; implicit-def: $vgpr66
                                        ; implicit-def: $vgpr67
	s_waitcnt lgkmcnt(0)
	v_cmp_gt_u64_e32 vcc, s[0:1], v[3:4]
	v_cmp_le_u64_e64 s[0:1], s[0:1], v[3:4]
	s_and_saveexec_b64 s[6:7], s[0:1]
	s_xor_b64 s[0:1], exec, s[6:7]
	s_cbranch_execz .LBB0_11
; %bb.10:
	s_mov_b32 s6, 0x4ec4ec5
	v_mul_hi_u32 v5, v0, s6
	s_mov_b64 s[18:19], 0
	v_mul_u32_u24_e32 v5, 52, v5
	v_sub_u32_e32 v58, v0, v5
	v_add_u32_e32 v59, 52, v58
	v_add_u32_e32 v60, 0x68, v58
	v_add_u32_e32 v61, 0x9c, v58
	v_add_u32_e32 v62, 0xd0, v58
	v_add_u32_e32 v63, 0x104, v58
	v_add_u32_e32 v64, 0x138, v58
	v_add_u32_e32 v65, 0x1a0, v58
	v_add_u32_e32 v66, 0x208, v58
	v_add_u32_e32 v67, 0x270, v58
                                        ; implicit-def: $vgpr0
                                        ; implicit-def: $vgpr5_vgpr6
.LBB0_11:
	s_or_saveexec_b64 s[6:7], s[0:1]
	v_mov_b32_e32 v8, s18
	v_mov_b32_e32 v57, s19
	;; [unrolled: 1-line block ×26, first 2 shown]
                                        ; implicit-def: $vgpr21
                                        ; implicit-def: $vgpr23
                                        ; implicit-def: $vgpr25
                                        ; implicit-def: $vgpr11
                                        ; implicit-def: $vgpr7
                                        ; implicit-def: $vgpr13
                                        ; implicit-def: $vgpr15
                                        ; implicit-def: $vgpr17
                                        ; implicit-def: $vgpr19
                                        ; implicit-def: $vgpr27
                                        ; implicit-def: $vgpr31
                                        ; implicit-def: $vgpr35
                                        ; implicit-def: $vgpr53
	s_xor_b64 exec, exec, s[6:7]
	s_cbranch_execz .LBB0_13
; %bb.12:
	s_add_u32 s0, s16, s10
	s_mov_b32 s10, 0x4ec4ec5
	v_mul_hi_u32 v7, v0, s10
	s_addc_u32 s1, s17, s11
	s_load_dwordx2 s[0:1], s[0:1], 0x0
	v_lshlrev_b64 v[5:6], 3, v[5:6]
	v_mul_u32_u24_e32 v7, 52, v7
	v_sub_u32_e32 v58, v0, v7
	v_mad_u64_u32 v[7:8], s[10:11], s2, v58, 0
	s_waitcnt lgkmcnt(0)
	v_mul_lo_u32 v13, s1, v3
	v_mul_lo_u32 v14, s0, v4
	v_mad_u64_u32 v[9:10], s[0:1], s0, v3, 0
	v_mov_b32_e32 v0, v8
	v_mad_u64_u32 v[11:12], s[0:1], s3, v58, v[0:1]
	v_add3_u32 v10, v10, v14, v13
	v_lshlrev_b64 v[9:10], 3, v[9:10]
	v_mov_b32_e32 v8, v11
	v_mov_b32_e32 v0, s13
	v_add_co_u32_e64 v11, s[0:1], s12, v9
	v_add_u32_e32 v12, 0x2a4, v58
	v_addc_co_u32_e64 v0, s[0:1], v0, v10, s[0:1]
	v_mad_u64_u32 v[9:10], s[0:1], s2, v12, 0
	v_add_co_u32_e64 v19, s[0:1], v11, v5
	v_addc_co_u32_e64 v20, s[0:1], v0, v6, s[0:1]
	v_mov_b32_e32 v0, v10
	v_add_u32_e32 v59, 52, v58
	v_lshlrev_b64 v[5:6], 3, v[7:8]
	v_mad_u64_u32 v[7:8], s[0:1], s3, v12, v[0:1]
	v_mad_u64_u32 v[11:12], s[0:1], s2, v59, 0
	v_add_co_u32_e64 v13, s[0:1], v19, v5
	v_mov_b32_e32 v10, v7
	v_mov_b32_e32 v0, v12
	v_addc_co_u32_e64 v14, s[0:1], v20, v6, s[0:1]
	v_lshlrev_b64 v[5:6], 3, v[9:10]
	v_mad_u64_u32 v[7:8], s[0:1], s3, v59, v[0:1]
	v_add_u32_e32 v10, 0x2d8, v58
	v_mad_u64_u32 v[8:9], s[0:1], s2, v10, 0
	v_add_co_u32_e64 v15, s[0:1], v19, v5
	v_mov_b32_e32 v0, v9
	v_addc_co_u32_e64 v16, s[0:1], v20, v6, s[0:1]
	v_mov_b32_e32 v12, v7
	v_mad_u64_u32 v[9:10], s[0:1], s3, v10, v[0:1]
	v_add_u32_e32 v60, 0x68, v58
	v_lshlrev_b64 v[5:6], 3, v[11:12]
	v_mad_u64_u32 v[10:11], s[0:1], s2, v60, 0
	v_add_co_u32_e64 v17, s[0:1], v19, v5
	v_mov_b32_e32 v0, v11
	v_addc_co_u32_e64 v18, s[0:1], v20, v6, s[0:1]
	v_lshlrev_b64 v[5:6], 3, v[8:9]
	v_mad_u64_u32 v[7:8], s[0:1], s3, v60, v[0:1]
	v_add_u32_e32 v12, 0x30c, v58
	v_mad_u64_u32 v[8:9], s[0:1], s2, v12, 0
	v_add_co_u32_e64 v26, s[0:1], v19, v5
	v_mov_b32_e32 v11, v7
	v_mov_b32_e32 v0, v9
	v_addc_co_u32_e64 v27, s[0:1], v20, v6, s[0:1]
	v_lshlrev_b64 v[5:6], 3, v[10:11]
	v_mad_u64_u32 v[9:10], s[0:1], s3, v12, v[0:1]
	v_add_u32_e32 v61, 0x9c, v58
	v_mad_u64_u32 v[10:11], s[0:1], s2, v61, 0
	v_add_co_u32_e64 v30, s[0:1], v19, v5
	v_mov_b32_e32 v0, v11
	v_addc_co_u32_e64 v31, s[0:1], v20, v6, s[0:1]
	v_lshlrev_b64 v[5:6], 3, v[8:9]
	v_mad_u64_u32 v[7:8], s[0:1], s3, v61, v[0:1]
	v_or_b32_e32 v12, 0x340, v58
	v_mad_u64_u32 v[8:9], s[0:1], s2, v12, 0
	v_add_co_u32_e64 v38, s[0:1], v19, v5
	v_mov_b32_e32 v11, v7
	v_mov_b32_e32 v0, v9
	v_addc_co_u32_e64 v39, s[0:1], v20, v6, s[0:1]
	v_lshlrev_b64 v[5:6], 3, v[10:11]
	v_mad_u64_u32 v[9:10], s[0:1], s3, v12, v[0:1]
	v_add_u32_e32 v62, 0xd0, v58
	v_mad_u64_u32 v[10:11], s[0:1], s2, v62, 0
	v_add_co_u32_e64 v42, s[0:1], v19, v5
	v_mov_b32_e32 v0, v11
	v_addc_co_u32_e64 v43, s[0:1], v20, v6, s[0:1]
	v_lshlrev_b64 v[5:6], 3, v[8:9]
	v_mad_u64_u32 v[7:8], s[0:1], s3, v62, v[0:1]
	v_add_u32_e32 v12, 0x374, v58
	v_mad_u64_u32 v[8:9], s[0:1], s2, v12, 0
	v_add_co_u32_e64 v44, s[0:1], v19, v5
	v_mov_b32_e32 v11, v7
	v_mov_b32_e32 v0, v9
	v_addc_co_u32_e64 v45, s[0:1], v20, v6, s[0:1]
	v_lshlrev_b64 v[5:6], 3, v[10:11]
	v_mad_u64_u32 v[9:10], s[0:1], s3, v12, v[0:1]
	v_add_u32_e32 v63, 0x104, v58
	v_mad_u64_u32 v[10:11], s[0:1], s2, v63, 0
	v_add_co_u32_e64 v46, s[0:1], v19, v5
	v_mov_b32_e32 v0, v11
	v_addc_co_u32_e64 v47, s[0:1], v20, v6, s[0:1]
	v_lshlrev_b64 v[5:6], 3, v[8:9]
	v_mad_u64_u32 v[7:8], s[0:1], s3, v63, v[0:1]
	v_add_u32_e32 v12, 0x3a8, v58
	;; [unrolled: 15-line block ×9, first 2 shown]
	v_mad_u64_u32 v[8:9], s[0:1], s2, v12, 0
	v_add_co_u32_e64 v94, s[0:1], v19, v5
	v_mov_b32_e32 v11, v7
	v_mov_b32_e32 v0, v9
	v_addc_co_u32_e64 v95, s[0:1], v20, v6, s[0:1]
	v_lshlrev_b64 v[5:6], 3, v[10:11]
	v_mad_u64_u32 v[9:10], s[0:1], s3, v12, v[0:1]
	v_add_co_u32_e64 v96, s[0:1], v19, v5
	v_addc_co_u32_e64 v97, s[0:1], v20, v6, s[0:1]
	v_lshlrev_b64 v[5:6], 3, v[8:9]
	v_add_co_u32_e64 v98, s[0:1], v19, v5
	v_addc_co_u32_e64 v99, s[0:1], v20, v6, s[0:1]
	global_load_dwordx2 v[8:9], v[13:14], off
	global_load_dwordx2 v[20:21], v[15:16], off
	;; [unrolled: 1-line block ×15, first 2 shown]
                                        ; kill: killed $vgpr26 killed $vgpr27
                                        ; kill: killed $vgpr48 killed $vgpr49
                                        ; kill: killed $vgpr15 killed $vgpr16
                                        ; kill: killed $vgpr30 killed $vgpr31
                                        ; kill: killed $vgpr68 killed $vgpr69
                                        ; kill: killed $vgpr76 killed $vgpr77
                                        ; kill: killed $vgpr38 killed $vgpr39
                                        ; kill: killed $vgpr70 killed $vgpr71
                                        ; kill: killed $vgpr42 killed $vgpr43
                                        ; kill: killed $vgpr72 killed $vgpr73
                                        ; kill: killed $vgpr44 killed $vgpr45
                                        ; kill: killed $vgpr74 killed $vgpr75
                                        ; kill: killed $vgpr17 killed $vgpr18
                                        ; kill: killed $vgpr46 killed $vgpr47
                                        ; kill: killed $vgpr13 killed $vgpr14
	global_load_dwordx2 v[12:13], v[78:79], off
	global_load_dwordx2 v[48:49], v[80:81], off
	;; [unrolled: 1-line block ×11, first 2 shown]
.LBB0_13:
	s_or_b64 exec, exec, s[6:7]
	s_waitcnt vmcnt(24)
	v_sub_f32_e32 v21, v9, v21
	s_waitcnt vmcnt(22)
	v_sub_f32_e32 v23, v57, v23
	s_waitcnt vmcnt(20)
	v_sub_f32_e32 v71, v55, v25
	s_waitcnt vmcnt(18)
	v_sub_f32_e32 v25, v50, v52
	v_sub_f32_e32 v69, v8, v20
	v_fma_f32 v20, v9, 2.0, -v21
	v_sub_f32_e32 v9, v56, v22
	v_fma_f32 v22, v57, 2.0, -v23
	;; [unrolled: 2-line block ×3, first 2 shown]
	s_waitcnt vmcnt(8)
	v_sub_f32_e32 v50, v49, v15
	s_waitcnt vmcnt(6)
	v_sub_f32_e32 v15, v46, v16
	v_fma_f32 v68, v8, 2.0, -v69
	v_fma_f32 v8, v56, 2.0, -v9
	;; [unrolled: 1-line block ×3, first 2 shown]
	v_sub_f32_e32 v54, v40, v10
	v_sub_f32_e32 v77, v33, v7
	;; [unrolled: 1-line block ×4, first 2 shown]
	v_fma_f32 v14, v46, 2.0, -v15
	s_waitcnt vmcnt(4)
	v_sub_f32_e32 v19, v45, v19
	v_lshl_add_u32 v7, v58, 3, 0
	v_lshl_add_u32 v46, v59, 3, 0
	v_sub_f32_e32 v52, v51, v53
	v_sub_f32_e32 v73, v41, v11
	v_fma_f32 v53, v40, 2.0, -v54
	v_sub_f32_e32 v11, v36, v34
	v_sub_f32_e32 v6, v32, v6
	v_fma_f32 v76, v33, 2.0, -v77
	v_sub_f32_e32 v33, v28, v12
	v_fma_f32 v12, v48, 2.0, -v13
	v_sub_f32_e32 v48, v47, v17
	v_sub_f32_e32 v17, v44, v18
	v_fma_f32 v18, v45, 2.0, -v19
	s_waitcnt vmcnt(2)
	v_sub_f32_e32 v45, v43, v31
	s_waitcnt vmcnt(0)
	v_sub_f32_e32 v31, v38, v26
	ds_write_b64 v7, v[68:69]
	ds_write_b64 v46, v[8:9]
	v_lshl_add_u32 v0, v60, 3, 0
	v_lshl_add_u32 v8, v61, 3, 0
	;; [unrolled: 1-line block ×3, first 2 shown]
	v_fma_f32 v10, v36, 2.0, -v11
	v_fma_f32 v5, v32, 2.0, -v6
	ds_write_b64 v0, v[56:57]
	ds_write_b64 v8, v[24:25]
	ds_write_b64 v26, v[53:54]
	v_lshl_add_u32 v24, v63, 3, 0
	v_lshl_add_u32 v34, v64, 3, 0
	;; [unrolled: 1-line block ×3, first 2 shown]
	s_load_dwordx2 s[4:5], s[4:5], 0x0
	v_sub_f32_e32 v75, v37, v35
	v_fma_f32 v32, v28, 2.0, -v33
	v_fma_f32 v78, v29, 2.0, -v79
	;; [unrolled: 1-line block ×3, first 2 shown]
	v_sub_f32_e32 v29, v42, v30
	ds_write_b64 v24, v[10:11]
	ds_write_b64 v34, v[5:6]
	ds_write_b64 v7, v[32:33] offset:2912
	ds_write_b64 v53, v[12:13]
	ds_write_b64 v7, v[14:15] offset:3744
	v_lshl_add_u32 v15, v66, 3, 0
	v_lshlrev_b32_e32 v9, 2, v65
	v_fma_f32 v72, v41, 2.0, -v73
	v_fma_f32 v74, v37, 2.0, -v75
	;; [unrolled: 1-line block ×3, first 2 shown]
	v_sub_f32_e32 v83, v39, v27
	v_fma_f32 v30, v38, 2.0, -v31
	ds_write_b64 v15, v[16:17]
	ds_write_b64 v7, v[28:29] offset:4576
	v_lshl_add_u32 v17, v67, 3, 0
	v_lshl_add_u32 v32, v58, 2, 0
	v_lshlrev_b32_e32 v37, 2, v62
	v_sub_u32_e32 v41, v53, v9
	v_lshlrev_b32_e32 v9, 2, v66
	v_fma_f32 v82, v39, 2.0, -v83
	ds_write_b64 v17, v[30:31]
	v_lshlrev_b32_e32 v35, 2, v60
	v_sub_u32_e32 v25, v26, v37
	v_lshlrev_b32_e32 v38, 2, v64
	v_sub_u32_e32 v42, v15, v9
	v_lshlrev_b32_e32 v9, 2, v67
	v_add_u32_e32 v27, 0x800, v32
	v_add_u32_e32 v30, 0xc00, v32
	;; [unrolled: 1-line block ×6, first 2 shown]
	v_fma_f32 v70, v55, 2.0, -v71
	v_fma_f32 v51, v51, 2.0, -v52
	;; [unrolled: 1-line block ×5, first 2 shown]
	s_waitcnt lgkmcnt(0)
	; wave barrier
	s_waitcnt lgkmcnt(0)
	ds_read2_b32 v[5:6], v32 offset1:156
	v_sub_u32_e32 v36, v0, v35
	v_sub_u32_e32 v40, v34, v38
	;; [unrolled: 1-line block ×3, first 2 shown]
	ds_read_b32 v54, v25
	ds_read_b32 v57, v40
	;; [unrolled: 1-line block ×5, first 2 shown]
	ds_read2_b32 v[102:103], v27 offset0:164 offset1:216
	ds_read2_b32 v[104:105], v30 offset0:12 offset1:64
	;; [unrolled: 1-line block ×6, first 2 shown]
	v_lshl_add_u32 v29, v59, 2, 0
	ds_read2_b32 v[55:56], v31 offset0:4 offset1:108
	ds_read2_b32 v[108:109], v39 offset0:84 offset1:188
	ds_read_b32 v80, v36
	ds_read_b32 v16, v29
	ds_read_b32 v81, v32 offset:5200
	s_waitcnt lgkmcnt(0)
	; wave barrier
	s_waitcnt lgkmcnt(0)
	ds_write_b64 v7, v[20:21]
	ds_write_b64 v46, v[22:23]
	;; [unrolled: 1-line block ×7, first 2 shown]
	ds_write_b64 v7, v[78:79] offset:2912
	ds_write_b64 v53, v[49:50]
	ds_write_b64 v7, v[47:48] offset:3744
	ds_write_b64 v15, v[18:19]
	;; [unrolled: 2-line block ×3, first 2 shown]
	v_and_b32_e32 v15, 1, v58
	v_mul_u32_u24_e32 v7, 12, v15
	v_lshlrev_b32_e32 v7, 3, v7
	s_waitcnt lgkmcnt(0)
	; wave barrier
	s_waitcnt lgkmcnt(0)
	global_load_dwordx4 v[17:20], v7, s[8:9]
	global_load_dwordx4 v[82:85], v7, s[8:9] offset:16
	global_load_dwordx4 v[86:89], v7, s[8:9] offset:32
	;; [unrolled: 1-line block ×5, first 2 shown]
	ds_read2_b32 v[7:8], v32 offset1:156
	ds_read_b32 v21, v25
	ds_read_b32 v22, v40
	;; [unrolled: 1-line block ×5, first 2 shown]
	ds_read2_b32 v[69:70], v27 offset0:164 offset1:216
	ds_read2_b32 v[73:74], v30 offset0:12 offset1:64
	;; [unrolled: 1-line block ×6, first 2 shown]
	ds_read_b32 v45, v36
	ds_read2_b32 v[116:117], v31 offset0:4 offset1:108
	ds_read2_b32 v[118:119], v39 offset0:84 offset1:188
	ds_read_b32 v66, v29
	ds_read_b32 v120, v32 offset:5200
	s_mov_b32 s6, 0x3f62ad3f
	s_mov_b32 s7, 0x3f116cb1
	;; [unrolled: 1-line block ×6, first 2 shown]
	s_waitcnt lgkmcnt(0)
	; wave barrier
	s_waitcnt lgkmcnt(0)
	v_cmp_gt_u32_e64 s[0:1], 26, v58
	s_waitcnt vmcnt(5)
	v_mul_f32_e32 v122, v80, v18
	v_mul_f32_e32 v76, v54, v20
	;; [unrolled: 1-line block ×3, first 2 shown]
	v_fmac_f32_e32 v122, v45, v17
	v_mul_f32_e32 v45, v21, v20
	v_fmac_f32_e32 v76, v21, v19
	s_waitcnt vmcnt(4)
	v_mul_f32_e32 v21, v22, v83
	v_fma_f32 v77, v54, v19, -v45
	v_fma_f32 v54, v57, v82, -v21
	v_mul_f32_e32 v21, v23, v85
	v_fma_f32 v50, v65, v84, -v21
	s_waitcnt vmcnt(3)
	v_mul_f32_e32 v21, v24, v87
	v_fma_f32 v121, v80, v17, -v46
	v_mul_f32_e32 v53, v57, v83
	v_mul_f32_e32 v49, v65, v85
	v_fma_f32 v46, v67, v86, -v21
	v_mul_f32_e32 v21, v44, v89
	v_fmac_f32_e32 v53, v22, v82
	v_fmac_f32_e32 v49, v23, v84
	v_fma_f32 v23, v68, v88, -v21
	v_mul_f32_e32 v22, v68, v89
	s_waitcnt vmcnt(2)
	v_mul_f32_e32 v21, v70, v91
	v_fmac_f32_e32 v22, v44, v88
	v_fma_f32 v44, v103, v90, -v21
	v_mul_f32_e32 v21, v74, v93
	v_fma_f32 v48, v105, v92, -v21
	s_waitcnt vmcnt(1)
	v_mul_f32_e32 v21, v79, v95
	v_mul_f32_e32 v47, v105, v93
	v_fma_f32 v52, v107, v94, -v21
	v_mul_f32_e32 v21, v111, v97
	v_fmac_f32_e32 v47, v74, v92
	v_mul_f32_e32 v51, v107, v95
	v_fma_f32 v75, v14, v96, -v21
	v_mul_f32_e32 v74, v14, v97
	s_waitcnt vmcnt(0)
	v_mul_f32_e32 v14, v113, v99
	v_mul_f32_e32 v45, v67, v87
	v_fmac_f32_e32 v51, v79, v94
	v_fma_f32 v80, v12, v98, -v14
	v_mul_f32_e32 v79, v12, v99
	v_mul_f32_e32 v12, v115, v101
	v_fmac_f32_e32 v45, v24, v86
	v_mul_f32_e32 v24, v103, v91
	v_fma_f32 v103, v10, v100, -v12
	v_mul_f32_e32 v105, v10, v101
	v_mul_f32_e32 v10, v8, v18
	v_fma_f32 v71, v6, v17, -v10
	v_mul_f32_e32 v72, v6, v18
	v_mul_f32_e32 v6, v116, v20
	v_fma_f32 v67, v55, v19, -v6
	v_mul_f32_e32 v6, v117, v83
	v_fma_f32 v57, v56, v82, -v6
	v_mul_f32_e32 v6, v118, v85
	v_mul_f32_e32 v68, v55, v20
	v_fma_f32 v55, v108, v84, -v6
	v_mul_f32_e32 v6, v119, v87
	v_fma_f32 v18, v109, v86, -v6
	;; [unrolled: 2-line block ×4, first 2 shown]
	v_mul_f32_e32 v6, v78, v93
	v_mul_f32_e32 v12, v102, v89
	v_fma_f32 v20, v106, v92, -v6
	v_mul_f32_e32 v6, v110, v95
	v_fmac_f32_e32 v72, v8, v17
	v_fmac_f32_e32 v12, v69, v88
	v_mul_f32_e32 v17, v104, v91
	v_fma_f32 v69, v13, v94, -v6
	v_mul_f32_e32 v6, v112, v97
	v_fmac_f32_e32 v17, v73, v90
	v_fma_f32 v73, v11, v96, -v6
	v_mul_f32_e32 v6, v114, v99
	v_mul_f32_e32 v65, v56, v83
	;; [unrolled: 1-line block ×3, first 2 shown]
	v_fma_f32 v83, v9, v98, -v6
	v_mul_f32_e32 v6, v120, v101
	v_fmac_f32_e32 v56, v118, v84
	v_fma_f32 v84, v81, v100, -v6
	v_add_f32_e32 v6, v5, v121
	v_add_f32_e32 v8, v7, v122
	;; [unrolled: 1-line block ×10, first 2 shown]
	v_fmac_f32_e32 v24, v70, v90
	v_add_f32_e32 v6, v6, v23
	v_add_f32_e32 v8, v8, v22
	;; [unrolled: 1-line block ×6, first 2 shown]
	v_fmac_f32_e32 v74, v111, v96
	v_mul_f32_e32 v21, v106, v93
	v_add_f32_e32 v6, v6, v52
	v_add_f32_e32 v8, v8, v51
	v_fmac_f32_e32 v79, v113, v98
	v_fmac_f32_e32 v105, v115, v100
	;; [unrolled: 1-line block ×3, first 2 shown]
	v_mul_f32_e32 v78, v11, v97
	v_mul_f32_e32 v85, v81, v101
	v_add_f32_e32 v6, v6, v75
	v_add_f32_e32 v8, v8, v74
	v_sub_f32_e32 v81, v121, v103
	v_fmac_f32_e32 v68, v116, v19
	v_fmac_f32_e32 v65, v117, v82
	v_mul_f32_e32 v19, v109, v87
	v_mul_f32_e32 v70, v13, v95
	v_fmac_f32_e32 v78, v112, v96
	v_mul_f32_e32 v9, v9, v99
	v_fmac_f32_e32 v85, v120, v100
	v_add_f32_e32 v6, v6, v80
	v_add_f32_e32 v11, v8, v79
	v_sub_f32_e32 v82, v122, v105
	v_mul_f32_e32 v88, 0xbeedf032, v81
	v_mul_f32_e32 v92, 0xbf52af12, v81
	;; [unrolled: 1-line block ×6, first 2 shown]
	v_fmac_f32_e32 v19, v119, v86
	v_fmac_f32_e32 v70, v110, v94
	;; [unrolled: 1-line block ×3, first 2 shown]
	v_add_f32_e32 v8, v6, v103
	v_add_f32_e32 v6, v11, v105
	v_add_f32_e32 v11, v121, v103
	v_add_f32_e32 v13, v122, v105
	v_mul_f32_e32 v86, 0xbeedf032, v82
	v_mov_b32_e32 v89, v88
	v_mul_f32_e32 v90, 0xbf52af12, v82
	v_mov_b32_e32 v93, v92
	;; [unrolled: 2-line block ×6, first 2 shown]
	v_fma_f32 v87, v11, s6, -v86
	v_fmac_f32_e32 v89, 0x3f62ad3f, v13
	v_fmac_f32_e32 v86, 0x3f62ad3f, v11
	v_fma_f32 v88, v13, s6, -v88
	v_fma_f32 v91, v11, s7, -v90
	v_fmac_f32_e32 v93, 0x3f116cb1, v13
	v_fmac_f32_e32 v90, 0x3f116cb1, v11
	v_fma_f32 v92, v13, s7, -v92
	;; [unrolled: 4-line block ×6, first 2 shown]
	v_add_f32_e32 v13, v76, v79
	v_sub_f32_e32 v76, v76, v79
	v_add_f32_e32 v89, v7, v89
	v_add_f32_e32 v88, v7, v88
	;; [unrolled: 1-line block ×13, first 2 shown]
	v_sub_f32_e32 v77, v77, v80
	v_mul_f32_e32 v79, 0xbf52af12, v76
	v_add_f32_e32 v86, v5, v86
	v_fma_f32 v80, v11, s7, -v79
	v_mul_f32_e32 v81, 0xbf52af12, v77
	v_fmac_f32_e32 v79, 0x3f116cb1, v11
	v_add_f32_e32 v87, v5, v87
	v_add_f32_e32 v91, v5, v91
	v_add_f32_e32 v90, v5, v90
	v_add_f32_e32 v95, v5, v95
	v_add_f32_e32 v94, v5, v94
	v_add_f32_e32 v99, v5, v99
	v_add_f32_e32 v98, v5, v98
	v_add_f32_e32 v103, v5, v103
	v_add_f32_e32 v102, v5, v102
	v_add_f32_e32 v106, v5, v106
	v_add_f32_e32 v5, v5, v82
	v_mov_b32_e32 v82, v81
	v_add_f32_e32 v79, v79, v86
	v_fma_f32 v81, v13, s7, -v81
	v_mul_f32_e32 v86, 0xbf6f5d39, v76
	v_add_f32_e32 v80, v80, v87
	v_fmac_f32_e32 v82, 0x3f116cb1, v13
	v_add_f32_e32 v81, v81, v88
	v_fma_f32 v87, v11, s11, -v86
	v_mul_f32_e32 v88, 0xbf6f5d39, v77
	v_fmac_f32_e32 v86, 0xbeb58ec6, v11
	v_add_f32_e32 v82, v82, v89
	v_mov_b32_e32 v89, v88
	v_add_f32_e32 v86, v86, v90
	v_fma_f32 v88, v13, s11, -v88
	v_mul_f32_e32 v90, 0xbe750f2a, v76
	v_add_f32_e32 v87, v87, v91
	v_fmac_f32_e32 v89, 0xbeb58ec6, v13
	v_add_f32_e32 v88, v88, v92
	v_fma_f32 v91, v11, s13, -v90
	v_mul_f32_e32 v92, 0xbe750f2a, v77
	v_fmac_f32_e32 v90, 0xbf788fa5, v11
	v_add_f32_e32 v89, v89, v93
	;; [unrolled: 11-line block ×3, first 2 shown]
	v_mov_b32_e32 v97, v96
	v_add_f32_e32 v94, v94, v98
	v_fma_f32 v96, v13, s12, -v96
	v_mul_f32_e32 v98, 0x3f7e222b, v76
	v_add_f32_e32 v95, v95, v99
	v_fmac_f32_e32 v97, 0xbf3f9e67, v13
	v_add_f32_e32 v96, v96, v100
	v_fma_f32 v99, v11, s10, -v98
	v_mul_f32_e32 v100, 0x3f7e222b, v77
	v_mul_f32_e32 v77, 0x3eedf032, v77
	v_add_f32_e32 v97, v97, v101
	v_add_f32_e32 v99, v99, v103
	v_mov_b32_e32 v101, v100
	v_fmac_f32_e32 v98, 0x3df6dbef, v11
	v_mul_f32_e32 v76, 0x3eedf032, v76
	v_mov_b32_e32 v103, v77
	v_fmac_f32_e32 v101, 0x3df6dbef, v13
	v_add_f32_e32 v98, v98, v102
	v_fma_f32 v100, v13, s10, -v100
	v_fma_f32 v102, v11, s6, -v76
	v_fmac_f32_e32 v103, 0x3f62ad3f, v13
	v_fmac_f32_e32 v76, 0x3f62ad3f, v11
	v_fma_f32 v11, v13, s6, -v77
	v_add_f32_e32 v13, v53, v74
	v_sub_f32_e32 v53, v53, v74
	v_add_f32_e32 v7, v11, v7
	v_add_f32_e32 v11, v54, v75
	v_sub_f32_e32 v54, v54, v75
	v_mul_f32_e32 v74, 0xbf7e222b, v53
	v_add_f32_e32 v5, v76, v5
	v_fma_f32 v75, v11, s10, -v74
	v_mul_f32_e32 v76, 0xbf7e222b, v54
	v_fmac_f32_e32 v74, 0x3df6dbef, v11
	v_mov_b32_e32 v77, v76
	v_add_f32_e32 v74, v74, v79
	v_fma_f32 v76, v13, s10, -v76
	v_mul_f32_e32 v79, 0xbe750f2a, v53
	v_add_f32_e32 v75, v75, v80
	v_fmac_f32_e32 v77, 0x3df6dbef, v13
	v_add_f32_e32 v76, v76, v81
	v_fma_f32 v80, v11, s13, -v79
	v_mul_f32_e32 v81, 0xbe750f2a, v54
	v_fmac_f32_e32 v79, 0xbf788fa5, v11
	v_add_f32_e32 v77, v77, v82
	v_mov_b32_e32 v82, v81
	v_add_f32_e32 v79, v79, v86
	v_fma_f32 v81, v13, s13, -v81
	v_mul_f32_e32 v86, 0x3f6f5d39, v53
	v_add_f32_e32 v80, v80, v87
	v_fmac_f32_e32 v82, 0xbf788fa5, v13
	v_add_f32_e32 v81, v81, v88
	v_fma_f32 v87, v11, s11, -v86
	v_mul_f32_e32 v88, 0x3f6f5d39, v54
	v_fmac_f32_e32 v86, 0xbeb58ec6, v11
	v_add_f32_e32 v82, v82, v89
	;; [unrolled: 11-line block ×3, first 2 shown]
	v_mov_b32_e32 v93, v92
	v_add_f32_e32 v90, v90, v94
	v_fma_f32 v92, v13, s6, -v92
	v_mul_f32_e32 v94, 0xbf52af12, v53
	v_add_f32_e32 v91, v91, v95
	v_fmac_f32_e32 v93, 0x3f62ad3f, v13
	v_add_f32_e32 v92, v92, v96
	v_fma_f32 v95, v11, s7, -v94
	v_mul_f32_e32 v96, 0xbf52af12, v54
	v_mul_f32_e32 v54, 0xbf29c268, v54
	v_add_f32_e32 v93, v93, v97
	v_add_f32_e32 v95, v95, v99
	v_mov_b32_e32 v97, v96
	v_fmac_f32_e32 v94, 0x3f116cb1, v11
	v_mul_f32_e32 v53, 0xbf29c268, v53
	v_mov_b32_e32 v99, v54
	v_fmac_f32_e32 v97, 0x3f116cb1, v13
	v_add_f32_e32 v94, v94, v98
	v_fma_f32 v96, v13, s7, -v96
	v_fma_f32 v98, v11, s12, -v53
	v_fmac_f32_e32 v99, 0xbf3f9e67, v13
	v_fmac_f32_e32 v53, 0xbf3f9e67, v11
	v_fma_f32 v11, v13, s12, -v54
	v_add_f32_e32 v13, v49, v51
	v_sub_f32_e32 v49, v49, v51
	v_add_f32_e32 v7, v11, v7
	v_add_f32_e32 v11, v50, v52
	v_sub_f32_e32 v50, v50, v52
	v_mul_f32_e32 v51, 0xbf6f5d39, v49
	v_add_f32_e32 v5, v53, v5
	v_fma_f32 v52, v11, s11, -v51
	v_mul_f32_e32 v53, 0xbf6f5d39, v50
	v_fmac_f32_e32 v51, 0xbeb58ec6, v11
	v_mov_b32_e32 v54, v53
	v_add_f32_e32 v51, v51, v74
	v_fma_f32 v53, v13, s11, -v53
	v_mul_f32_e32 v74, 0x3f29c268, v49
	v_add_f32_e32 v52, v52, v75
	v_fmac_f32_e32 v54, 0xbeb58ec6, v13
	v_add_f32_e32 v53, v53, v76
	v_fma_f32 v75, v11, s12, -v74
	v_mul_f32_e32 v76, 0x3f29c268, v50
	v_fmac_f32_e32 v74, 0xbf3f9e67, v11
	v_add_f32_e32 v54, v54, v77
	v_mov_b32_e32 v77, v76
	v_add_f32_e32 v74, v74, v79
	v_fma_f32 v76, v13, s12, -v76
	v_mul_f32_e32 v79, 0x3eedf032, v49
	v_add_f32_e32 v75, v75, v80
	v_fmac_f32_e32 v77, 0xbf3f9e67, v13
	v_add_f32_e32 v76, v76, v81
	v_fma_f32 v80, v11, s6, -v79
	v_mul_f32_e32 v81, 0x3eedf032, v50
	v_fmac_f32_e32 v79, 0x3f62ad3f, v11
	v_add_f32_e32 v77, v77, v82
	;; [unrolled: 11-line block ×3, first 2 shown]
	v_mov_b32_e32 v89, v88
	v_add_f32_e32 v86, v86, v90
	v_fma_f32 v88, v13, s10, -v88
	v_mul_f32_e32 v90, 0x3e750f2a, v49
	v_add_f32_e32 v87, v87, v91
	v_fmac_f32_e32 v89, 0x3df6dbef, v13
	v_add_f32_e32 v88, v88, v92
	v_fma_f32 v91, v11, s13, -v90
	v_mul_f32_e32 v92, 0x3e750f2a, v50
	v_fmac_f32_e32 v90, 0xbf788fa5, v11
	v_mul_f32_e32 v49, 0x3f52af12, v49
	v_mul_f32_e32 v50, 0x3f52af12, v50
	v_add_f32_e32 v89, v89, v93
	v_add_f32_e32 v91, v91, v95
	v_mov_b32_e32 v93, v92
	v_add_f32_e32 v90, v90, v94
	v_fma_f32 v94, v11, s7, -v49
	v_mov_b32_e32 v95, v50
	v_fmac_f32_e32 v49, 0x3f116cb1, v11
	v_fma_f32 v11, v13, s7, -v50
	v_fmac_f32_e32 v93, 0xbf788fa5, v13
	v_fma_f32 v92, v13, s13, -v92
	v_fmac_f32_e32 v95, 0x3f116cb1, v13
	v_add_f32_e32 v7, v11, v7
	v_add_f32_e32 v11, v46, v48
	;; [unrolled: 1-line block ×3, first 2 shown]
	v_sub_f32_e32 v46, v46, v48
	v_sub_f32_e32 v45, v45, v47
	v_add_f32_e32 v5, v49, v5
	v_mul_f32_e32 v47, 0xbf29c268, v45
	v_mul_f32_e32 v49, 0xbf29c268, v46
	v_fma_f32 v48, v11, s12, -v47
	v_mov_b32_e32 v50, v49
	v_fmac_f32_e32 v47, 0xbf3f9e67, v11
	v_fma_f32 v49, v13, s12, -v49
	v_fmac_f32_e32 v50, 0xbf3f9e67, v13
	v_add_f32_e32 v47, v47, v51
	v_add_f32_e32 v49, v49, v53
	v_mul_f32_e32 v51, 0x3f7e222b, v45
	v_mul_f32_e32 v53, 0x3f7e222b, v46
	v_add_f32_e32 v48, v48, v52
	v_add_f32_e32 v50, v50, v54
	v_fma_f32 v52, v11, s10, -v51
	v_mov_b32_e32 v54, v53
	v_fma_f32 v53, v13, s10, -v53
	v_add_f32_e32 v52, v52, v75
	v_fmac_f32_e32 v51, 0x3df6dbef, v11
	v_add_f32_e32 v75, v53, v76
	v_mul_f32_e32 v53, 0xbf52af12, v45
	v_add_f32_e32 v51, v51, v74
	v_fma_f32 v74, v11, s7, -v53
	v_add_f32_e32 v100, v100, v104
	v_add_f32_e32 v76, v74, v80
	v_mul_f32_e32 v74, 0xbf52af12, v46
	v_fmac_f32_e32 v53, 0x3f116cb1, v11
	v_add_f32_e32 v96, v96, v100
	v_add_f32_e32 v79, v53, v79
	v_fma_f32 v53, v13, s7, -v74
	v_add_f32_e32 v92, v92, v96
	v_fmac_f32_e32 v54, 0x3df6dbef, v13
	v_add_f32_e32 v96, v53, v81
	v_mul_f32_e32 v53, 0x3e750f2a, v45
	v_add_f32_e32 v54, v54, v77
	v_mov_b32_e32 v77, v74
	v_fma_f32 v74, v11, s13, -v53
	v_add_f32_e32 v87, v74, v87
	v_mul_f32_e32 v74, 0x3e750f2a, v46
	v_fmac_f32_e32 v53, 0xbf788fa5, v11
	v_add_f32_e32 v86, v53, v86
	v_fma_f32 v53, v13, s13, -v74
	v_add_f32_e32 v88, v53, v88
	v_mul_f32_e32 v53, 0x3eedf032, v45
	v_mov_b32_e32 v80, v74
	v_fma_f32 v74, v11, s6, -v53
	v_add_f32_e32 v91, v74, v91
	v_mul_f32_e32 v74, 0x3eedf032, v46
	v_fmac_f32_e32 v53, 0x3f62ad3f, v11
	v_add_f32_e32 v101, v101, v105
	v_add_f32_e32 v90, v53, v90
	v_fma_f32 v53, v13, s6, -v74
	v_mul_f32_e32 v45, 0xbf6f5d39, v45
	v_add_f32_e32 v102, v102, v106
	v_add_f32_e32 v103, v103, v107
	;; [unrolled: 1-line block ×4, first 2 shown]
	v_fma_f32 v53, v11, s11, -v45
	v_mul_f32_e32 v46, 0xbf6f5d39, v46
	v_fmac_f32_e32 v45, 0xbeb58ec6, v11
	v_add_f32_e32 v98, v98, v102
	v_add_f32_e32 v99, v99, v103
	;; [unrolled: 1-line block ×4, first 2 shown]
	v_fma_f32 v5, v13, s11, -v46
	v_add_f32_e32 v100, v22, v24
	v_sub_f32_e32 v24, v22, v24
	v_add_f32_e32 v94, v94, v98
	v_add_f32_e32 v95, v95, v99
	;; [unrolled: 1-line block ×4, first 2 shown]
	v_sub_f32_e32 v101, v23, v44
	v_mul_f32_e32 v5, 0xbe750f2a, v24
	v_fmac_f32_e32 v77, 0x3f116cb1, v13
	v_fma_f32 v7, v99, s13, -v5
	v_mul_f32_e32 v11, 0xbe750f2a, v101
	v_add_f32_e32 v77, v77, v82
	v_add_f32_e32 v82, v7, v48
	v_mov_b32_e32 v7, v11
	v_fmac_f32_e32 v80, 0xbf788fa5, v13
	v_fmac_f32_e32 v7, 0xbf788fa5, v100
	;; [unrolled: 1-line block ×3, first 2 shown]
	v_add_f32_e32 v89, v80, v89
	v_mov_b32_e32 v80, v74
	v_add_f32_e32 v94, v53, v94
	v_mov_b32_e32 v53, v46
	v_add_f32_e32 v74, v7, v50
	v_add_f32_e32 v7, v5, v47
	v_fma_f32 v5, v100, s13, -v11
	v_mul_f32_e32 v11, 0x3eedf032, v24
	v_fmac_f32_e32 v80, 0x3f62ad3f, v13
	v_fmac_f32_e32 v53, 0xbeb58ec6, v13
	v_fma_f32 v13, v99, s6, -v11
	v_add_f32_e32 v93, v80, v93
	v_add_f32_e32 v80, v13, v52
	v_mul_f32_e32 v13, 0x3eedf032, v101
	v_mov_b32_e32 v22, v13
	v_fma_f32 v13, v100, s6, -v13
	v_fmac_f32_e32 v22, 0x3f62ad3f, v100
	v_add_f32_e32 v44, v13, v75
	v_mul_f32_e32 v13, 0xbf29c268, v24
	v_add_f32_e32 v95, v53, v95
	v_add_f32_e32 v53, v22, v54
	v_fma_f32 v22, v99, s12, -v13
	v_add_f32_e32 v81, v22, v76
	v_mul_f32_e32 v22, 0xbf29c268, v101
	v_mov_b32_e32 v23, v22
	v_fma_f32 v22, v100, s12, -v22
	v_fmac_f32_e32 v23, 0xbf3f9e67, v100
	v_add_f32_e32 v45, v22, v96
	v_mul_f32_e32 v22, 0x3f52af12, v24
	v_add_f32_e32 v54, v23, v77
	v_fma_f32 v23, v99, s7, -v22
	v_add_f32_e32 v77, v23, v87
	v_mul_f32_e32 v23, 0x3f52af12, v101
	v_mov_b32_e32 v46, v23
	v_fmac_f32_e32 v11, 0x3f62ad3f, v99
	v_fmac_f32_e32 v46, 0x3f116cb1, v100
	v_fma_f32 v23, v100, s7, -v23
	v_add_f32_e32 v11, v11, v51
	v_add_f32_e32 v51, v46, v89
	;; [unrolled: 1-line block ×3, first 2 shown]
	v_mul_f32_e32 v23, 0xbf6f5d39, v24
	v_fmac_f32_e32 v13, 0xbf3f9e67, v99
	v_fma_f32 v47, v99, s11, -v23
	v_add_f32_e32 v13, v13, v79
	v_add_f32_e32 v79, v47, v91
	v_mul_f32_e32 v47, 0xbf6f5d39, v101
	v_mov_b32_e32 v48, v47
	v_fmac_f32_e32 v48, 0xbeb58ec6, v100
	v_mul_f32_e32 v24, 0x3f7e222b, v24
	v_add_f32_e32 v52, v48, v93
	v_fma_f32 v48, v99, s10, -v24
	v_add_f32_e32 v75, v48, v94
	v_mul_f32_e32 v48, 0x3f7e222b, v101
	v_fmac_f32_e32 v24, 0x3df6dbef, v99
	v_add_f32_e32 v76, v24, v97
	v_fma_f32 v24, v100, s10, -v48
	v_add_f32_e32 v50, v24, v98
	v_add_f32_e32 v24, v16, v71
	v_add_f32_e32 v5, v5, v49
	v_mov_b32_e32 v49, v48
	v_add_f32_e32 v48, v66, v72
	v_add_f32_e32 v24, v24, v67
	;; [unrolled: 1-line block ×16, first 2 shown]
	v_fmac_f32_e32 v22, 0x3f116cb1, v99
	v_add_f32_e32 v48, v48, v70
	v_add_f32_e32 v24, v24, v73
	;; [unrolled: 1-line block ×3, first 2 shown]
	v_fmac_f32_e32 v23, 0xbeb58ec6, v99
	v_fma_f32 v47, v100, s11, -v47
	v_add_f32_e32 v48, v48, v78
	v_add_f32_e32 v24, v24, v83
	;; [unrolled: 1-line block ×4, first 2 shown]
	v_sub_f32_e32 v71, v71, v84
	v_sub_f32_e32 v72, v72, v85
	v_add_f32_e32 v23, v23, v90
	v_add_f32_e32 v47, v47, v92
	v_fmac_f32_e32 v49, 0x3df6dbef, v100
	v_add_f32_e32 v48, v48, v9
	v_add_f32_e32 v24, v24, v84
	v_mul_f32_e32 v84, 0xbeedf032, v72
	v_mul_f32_e32 v88, 0xbeedf032, v71
	;; [unrolled: 1-line block ×12, first 2 shown]
	v_add_f32_e32 v49, v49, v95
	v_add_f32_e32 v48, v48, v85
	v_fma_f32 v85, v86, s6, -v84
	v_mov_b32_e32 v89, v88
	v_fmac_f32_e32 v84, 0x3f62ad3f, v86
	v_fma_f32 v91, v86, s7, -v90
	v_mov_b32_e32 v93, v92
	v_fmac_f32_e32 v90, 0x3f116cb1, v86
	;; [unrolled: 3-line block ×6, first 2 shown]
	v_add_f32_e32 v85, v16, v85
	v_fmac_f32_e32 v89, 0x3f62ad3f, v87
	v_add_f32_e32 v84, v16, v84
	v_fma_f32 v88, v87, s6, -v88
	v_add_f32_e32 v91, v16, v91
	v_fmac_f32_e32 v93, 0x3f116cb1, v87
	v_add_f32_e32 v90, v16, v90
	v_fma_f32 v92, v87, s7, -v92
	;; [unrolled: 4-line block ×6, first 2 shown]
	v_add_f32_e32 v72, v68, v9
	v_sub_f32_e32 v9, v68, v9
	v_add_f32_e32 v89, v66, v89
	v_add_f32_e32 v88, v66, v88
	;; [unrolled: 1-line block ×13, first 2 shown]
	v_mul_f32_e32 v68, 0xbf52af12, v9
	v_sub_f32_e32 v67, v67, v83
	v_fma_f32 v83, v71, s7, -v68
	v_add_f32_e32 v83, v83, v85
	v_mul_f32_e32 v85, 0xbf52af12, v67
	v_fmac_f32_e32 v68, 0x3f116cb1, v71
	v_mov_b32_e32 v86, v85
	v_add_f32_e32 v68, v68, v84
	v_fma_f32 v84, v72, s7, -v85
	v_mul_f32_e32 v85, 0xbf6f5d39, v9
	v_fma_f32 v87, v71, s11, -v85
	v_fmac_f32_e32 v85, 0xbeb58ec6, v71
	v_fmac_f32_e32 v86, 0x3f116cb1, v72
	v_add_f32_e32 v84, v84, v88
	v_mul_f32_e32 v88, 0xbf6f5d39, v67
	v_add_f32_e32 v85, v85, v90
	v_mul_f32_e32 v90, 0xbe750f2a, v9
	v_add_f32_e32 v86, v86, v89
	v_add_f32_e32 v87, v87, v91
	v_mov_b32_e32 v89, v88
	v_fma_f32 v88, v72, s11, -v88
	v_fma_f32 v91, v71, s13, -v90
	v_fmac_f32_e32 v90, 0xbf788fa5, v71
	v_fmac_f32_e32 v89, 0xbeb58ec6, v72
	v_add_f32_e32 v88, v88, v92
	v_mul_f32_e32 v92, 0xbe750f2a, v67
	v_add_f32_e32 v90, v90, v94
	v_mul_f32_e32 v94, 0x3f29c268, v9
	v_add_f32_e32 v89, v89, v93
	v_add_f32_e32 v91, v91, v95
	v_mov_b32_e32 v93, v92
	v_fma_f32 v92, v72, s13, -v92
	;; [unrolled: 11-line block ×3, first 2 shown]
	v_fma_f32 v99, v71, s10, -v98
	v_fmac_f32_e32 v98, 0x3df6dbef, v71
	v_mul_f32_e32 v9, 0x3eedf032, v9
	v_add_f32_e32 v96, v96, v100
	v_mul_f32_e32 v100, 0x3f7e222b, v67
	v_add_f32_e32 v98, v98, v102
	v_fma_f32 v102, v71, s6, -v9
	v_mul_f32_e32 v67, 0x3eedf032, v67
	v_fmac_f32_e32 v9, 0x3f62ad3f, v71
	v_fmac_f32_e32 v97, 0xbf3f9e67, v72
	v_add_f32_e32 v99, v99, v103
	v_mov_b32_e32 v103, v67
	v_add_f32_e32 v9, v9, v16
	v_fma_f32 v16, v72, s6, -v67
	v_add_f32_e32 v67, v65, v78
	v_sub_f32_e32 v65, v65, v78
	v_add_f32_e32 v97, v97, v101
	v_mov_b32_e32 v101, v100
	v_add_f32_e32 v16, v16, v66
	v_add_f32_e32 v66, v57, v73
	v_sub_f32_e32 v57, v57, v73
	v_mul_f32_e32 v71, 0xbf7e222b, v65
	v_fmac_f32_e32 v101, 0x3df6dbef, v72
	v_fma_f32 v100, v72, s10, -v100
	v_fmac_f32_e32 v103, 0x3f62ad3f, v72
	v_fma_f32 v72, v66, s10, -v71
	v_mul_f32_e32 v73, 0xbf7e222b, v57
	v_fmac_f32_e32 v71, 0x3df6dbef, v66
	v_mov_b32_e32 v78, v73
	v_add_f32_e32 v68, v71, v68
	v_fma_f32 v71, v67, s10, -v73
	v_mul_f32_e32 v73, 0xbe750f2a, v65
	v_add_f32_e32 v72, v72, v83
	v_fma_f32 v83, v66, s13, -v73
	v_fmac_f32_e32 v73, 0xbf788fa5, v66
	v_fmac_f32_e32 v78, 0x3df6dbef, v67
	v_add_f32_e32 v71, v71, v84
	v_mul_f32_e32 v84, 0xbe750f2a, v57
	v_add_f32_e32 v73, v73, v85
	v_mul_f32_e32 v85, 0x3f6f5d39, v65
	v_add_f32_e32 v78, v78, v86
	v_add_f32_e32 v83, v83, v87
	v_mov_b32_e32 v86, v84
	v_fma_f32 v84, v67, s13, -v84
	v_fma_f32 v87, v66, s11, -v85
	v_fmac_f32_e32 v85, 0xbeb58ec6, v66
	v_fmac_f32_e32 v86, 0xbf788fa5, v67
	v_add_f32_e32 v84, v84, v88
	v_mul_f32_e32 v88, 0x3f6f5d39, v57
	v_add_f32_e32 v85, v85, v90
	v_mul_f32_e32 v90, 0x3eedf032, v65
	v_add_f32_e32 v86, v86, v89
	v_add_f32_e32 v87, v87, v91
	v_mov_b32_e32 v89, v88
	v_fma_f32 v88, v67, s11, -v88
	;; [unrolled: 11-line block ×3, first 2 shown]
	v_fma_f32 v95, v66, s7, -v94
	v_fmac_f32_e32 v94, 0x3f116cb1, v66
	v_mul_f32_e32 v65, 0xbf29c268, v65
	v_add_f32_e32 v92, v92, v96
	v_mul_f32_e32 v96, 0xbf52af12, v57
	v_add_f32_e32 v94, v94, v98
	v_fma_f32 v98, v66, s12, -v65
	v_mul_f32_e32 v57, 0xbf29c268, v57
	v_fmac_f32_e32 v65, 0xbf3f9e67, v66
	v_fmac_f32_e32 v93, 0x3f62ad3f, v67
	v_add_f32_e32 v95, v95, v99
	v_mov_b32_e32 v99, v57
	v_add_f32_e32 v9, v65, v9
	v_fma_f32 v57, v67, s12, -v57
	v_add_f32_e32 v65, v56, v70
	v_sub_f32_e32 v56, v56, v70
	v_add_f32_e32 v93, v93, v97
	v_mov_b32_e32 v97, v96
	v_add_f32_e32 v16, v57, v16
	v_add_f32_e32 v57, v55, v69
	v_sub_f32_e32 v55, v55, v69
	v_mul_f32_e32 v66, 0xbf6f5d39, v56
	v_fmac_f32_e32 v97, 0x3f116cb1, v67
	v_fma_f32 v96, v67, s7, -v96
	v_fmac_f32_e32 v99, 0xbf3f9e67, v67
	v_fma_f32 v67, v57, s11, -v66
	v_mul_f32_e32 v69, 0xbf6f5d39, v55
	v_fmac_f32_e32 v66, 0xbeb58ec6, v57
	v_mov_b32_e32 v70, v69
	v_add_f32_e32 v66, v66, v68
	v_fma_f32 v68, v65, s11, -v69
	v_mul_f32_e32 v69, 0x3f29c268, v56
	v_add_f32_e32 v68, v68, v71
	v_fma_f32 v71, v57, s12, -v69
	v_fmac_f32_e32 v69, 0xbf3f9e67, v57
	v_add_f32_e32 v67, v67, v72
	v_fmac_f32_e32 v70, 0xbeb58ec6, v65
	v_mul_f32_e32 v72, 0x3f29c268, v55
	v_add_f32_e32 v69, v69, v73
	v_mul_f32_e32 v73, 0x3eedf032, v56
	v_add_f32_e32 v70, v70, v78
	v_add_f32_e32 v71, v71, v83
	v_mov_b32_e32 v78, v72
	v_fma_f32 v72, v65, s12, -v72
	v_fma_f32 v83, v57, s6, -v73
	v_fmac_f32_e32 v73, 0x3f62ad3f, v57
	v_fmac_f32_e32 v78, 0xbf3f9e67, v65
	v_add_f32_e32 v72, v72, v84
	v_mul_f32_e32 v84, 0x3eedf032, v55
	v_add_f32_e32 v73, v73, v85
	v_mul_f32_e32 v85, 0xbf7e222b, v56
	v_add_f32_e32 v78, v78, v86
	v_add_f32_e32 v83, v83, v87
	v_mov_b32_e32 v86, v84
	v_fma_f32 v84, v65, s6, -v84
	v_fma_f32 v87, v57, s10, -v85
	v_fmac_f32_e32 v85, 0x3df6dbef, v57
	v_fmac_f32_e32 v86, 0x3f62ad3f, v65
	v_add_f32_e32 v84, v84, v88
	v_mul_f32_e32 v88, 0xbf7e222b, v55
	v_add_f32_e32 v85, v85, v90
	v_mul_f32_e32 v90, 0x3e750f2a, v56
	v_add_f32_e32 v86, v86, v89
	v_add_f32_e32 v87, v87, v91
	v_mov_b32_e32 v89, v88
	v_fma_f32 v88, v65, s10, -v88
	v_fma_f32 v91, v57, s13, -v90
	v_fmac_f32_e32 v90, 0xbf788fa5, v57
	v_mul_f32_e32 v56, 0x3f52af12, v56
	v_add_f32_e32 v88, v88, v92
	v_mul_f32_e32 v92, 0x3e750f2a, v55
	v_add_f32_e32 v90, v90, v94
	v_fma_f32 v94, v57, s7, -v56
	v_mul_f32_e32 v55, 0x3f52af12, v55
	v_fmac_f32_e32 v56, 0x3f116cb1, v57
	v_add_f32_e32 v91, v91, v95
	v_mov_b32_e32 v95, v55
	v_add_f32_e32 v9, v56, v9
	v_fma_f32 v55, v65, s7, -v55
	v_add_f32_e32 v56, v19, v21
	v_sub_f32_e32 v19, v19, v21
	v_fmac_f32_e32 v89, 0x3df6dbef, v65
	v_add_f32_e32 v16, v55, v16
	v_add_f32_e32 v55, v18, v20
	v_sub_f32_e32 v18, v18, v20
	v_mul_f32_e32 v20, 0xbf29c268, v19
	v_add_f32_e32 v89, v89, v93
	v_mov_b32_e32 v93, v92
	v_fma_f32 v21, v55, s12, -v20
	v_mul_f32_e32 v57, 0xbf29c268, v18
	v_fmac_f32_e32 v20, 0xbf3f9e67, v55
	v_fmac_f32_e32 v93, 0xbf788fa5, v65
	v_fma_f32 v92, v65, s13, -v92
	v_fmac_f32_e32 v95, 0x3f116cb1, v65
	v_mov_b32_e32 v65, v57
	v_add_f32_e32 v20, v20, v66
	v_fma_f32 v57, v56, s12, -v57
	v_mul_f32_e32 v66, 0x3f7e222b, v19
	v_add_f32_e32 v21, v21, v67
	v_fmac_f32_e32 v65, 0xbf3f9e67, v56
	v_add_f32_e32 v57, v57, v68
	v_fma_f32 v67, v55, s10, -v66
	v_mul_f32_e32 v68, 0x3f7e222b, v18
	v_fmac_f32_e32 v66, 0x3df6dbef, v55
	v_add_f32_e32 v65, v65, v70
	v_mov_b32_e32 v70, v68
	v_add_f32_e32 v66, v66, v69
	v_fma_f32 v68, v56, s10, -v68
	v_mul_f32_e32 v69, 0xbf52af12, v19
	v_add_f32_e32 v67, v67, v71
	v_fmac_f32_e32 v70, 0x3df6dbef, v56
	v_add_f32_e32 v68, v68, v72
	v_fma_f32 v71, v55, s7, -v69
	v_mul_f32_e32 v72, 0xbf52af12, v18
	v_fmac_f32_e32 v69, 0x3f116cb1, v55
	v_add_f32_e32 v70, v70, v78
	v_mov_b32_e32 v78, v72
	v_add_f32_e32 v69, v69, v73
	v_mul_f32_e32 v73, 0x3e750f2a, v19
	v_add_f32_e32 v71, v71, v83
	v_fmac_f32_e32 v78, 0x3f116cb1, v56
	v_fma_f32 v83, v55, s13, -v73
	v_add_f32_e32 v78, v78, v86
	v_fma_f32 v72, v56, s7, -v72
	v_add_f32_e32 v86, v83, v87
	v_mul_f32_e32 v83, 0x3e750f2a, v18
	v_add_f32_e32 v72, v72, v84
	v_mov_b32_e32 v84, v83
	v_fmac_f32_e32 v73, 0xbf788fa5, v55
	v_fma_f32 v83, v56, s13, -v83
	v_fmac_f32_e32 v84, 0xbf788fa5, v56
	v_add_f32_e32 v73, v73, v85
	v_add_f32_e32 v85, v83, v88
	v_mul_f32_e32 v83, 0x3eedf032, v19
	v_add_f32_e32 v100, v100, v104
	v_add_f32_e32 v87, v84, v89
	v_fma_f32 v84, v55, s6, -v83
	v_add_f32_e32 v102, v102, v106
	v_add_f32_e32 v96, v96, v100
	;; [unrolled: 1-line block ×3, first 2 shown]
	v_mul_f32_e32 v84, 0x3eedf032, v18
	v_fmac_f32_e32 v83, 0x3f62ad3f, v55
	v_add_f32_e32 v98, v98, v102
	v_add_f32_e32 v92, v92, v96
	;; [unrolled: 1-line block ×3, first 2 shown]
	v_fma_f32 v83, v56, s6, -v84
	v_mul_f32_e32 v19, 0xbf6f5d39, v19
	v_add_f32_e32 v101, v101, v105
	v_add_f32_e32 v103, v103, v107
	;; [unrolled: 1-line block ×4, first 2 shown]
	v_fma_f32 v83, v55, s11, -v19
	v_mul_f32_e32 v18, 0xbf6f5d39, v18
	v_add_f32_e32 v97, v97, v101
	v_add_f32_e32 v99, v99, v103
	v_mov_b32_e32 v89, v84
	v_add_f32_e32 v92, v83, v94
	v_mov_b32_e32 v83, v18
	v_fmac_f32_e32 v19, 0xbeb58ec6, v55
	v_add_f32_e32 v93, v93, v97
	v_add_f32_e32 v95, v95, v99
	v_fmac_f32_e32 v89, 0x3f62ad3f, v56
	v_fmac_f32_e32 v83, 0xbeb58ec6, v56
	v_add_f32_e32 v94, v19, v9
	v_fma_f32 v9, v56, s11, -v18
	v_add_f32_e32 v96, v12, v17
	v_sub_f32_e32 v17, v12, v17
	v_add_f32_e32 v89, v89, v93
	v_add_f32_e32 v93, v83, v95
	;; [unrolled: 1-line block ×4, first 2 shown]
	v_mul_f32_e32 v9, 0xbe750f2a, v17
	v_sub_f32_e32 v97, v10, v14
	v_fma_f32 v10, v18, s13, -v9
	v_add_f32_e32 v84, v10, v21
	v_mul_f32_e32 v10, 0xbe750f2a, v97
	v_mov_b32_e32 v12, v10
	v_fma_f32 v10, v96, s13, -v10
	v_fmac_f32_e32 v12, 0xbf788fa5, v96
	v_add_f32_e32 v55, v10, v57
	v_mul_f32_e32 v10, 0x3eedf032, v17
	v_add_f32_e32 v56, v12, v65
	v_fma_f32 v12, v18, s6, -v10
	v_add_f32_e32 v21, v12, v67
	v_mul_f32_e32 v12, 0x3eedf032, v97
	v_mov_b32_e32 v14, v12
	v_fma_f32 v12, v96, s6, -v12
	v_fmac_f32_e32 v14, 0x3f62ad3f, v96
	v_add_f32_e32 v65, v12, v68
	v_mul_f32_e32 v12, 0xbf29c268, v17
	v_add_f32_e32 v57, v14, v70
	v_fma_f32 v14, v18, s12, -v12
	v_add_f32_e32 v83, v14, v71
	v_mul_f32_e32 v14, 0xbf29c268, v97
	v_mov_b32_e32 v16, v14
	v_fma_f32 v14, v96, s12, -v14
	v_fmac_f32_e32 v10, 0x3f62ad3f, v18
	v_fmac_f32_e32 v16, 0xbf3f9e67, v96
	v_add_f32_e32 v67, v14, v72
	v_mul_f32_e32 v14, 0x3f52af12, v17
	v_add_f32_e32 v10, v10, v66
	v_add_f32_e32 v66, v16, v78
	v_fma_f32 v16, v18, s7, -v14
	v_fmac_f32_e32 v9, 0xbf788fa5, v18
	v_add_f32_e32 v19, v16, v86
	v_mul_f32_e32 v16, 0x3f52af12, v97
	v_fmac_f32_e32 v14, 0x3f116cb1, v18
	v_add_f32_e32 v9, v9, v20
	v_fmac_f32_e32 v12, 0xbf3f9e67, v18
	v_mov_b32_e32 v20, v16
	v_add_f32_e32 v14, v14, v73
	v_fma_f32 v16, v96, s7, -v16
	v_mul_f32_e32 v73, 0x3f7e222b, v17
	v_add_f32_e32 v12, v12, v69
	v_fmac_f32_e32 v20, 0x3f116cb1, v96
	v_add_f32_e32 v69, v16, v85
	v_mul_f32_e32 v16, 0xbf6f5d39, v17
	v_fma_f32 v17, v18, s10, -v73
	v_mul_f32_e32 v78, 0x3f7e222b, v97
	v_fmac_f32_e32 v73, 0x3df6dbef, v18
	v_add_f32_e32 v68, v20, v87
	v_fma_f32 v20, v18, s11, -v16
	v_fmac_f32_e32 v16, 0xbeb58ec6, v18
	v_mov_b32_e32 v72, v78
	v_add_f32_e32 v18, v73, v94
	v_fma_f32 v73, v96, s10, -v78
	v_lshrrev_b32_e32 v78, 1, v58
	v_mul_u32_u24_e32 v78, 26, v78
	v_or_b32_e32 v78, v78, v15
	v_lshl_add_u32 v78, v78, 2, 0
	ds_write2_b32 v78, v8, v82 offset1:2
	ds_write2_b32 v78, v80, v81 offset0:4 offset1:6
	ds_write2_b32 v78, v77, v79 offset0:8 offset1:10
	;; [unrolled: 1-line block ×3, first 2 shown]
	v_lshrrev_b32_e32 v8, 1, v59
	v_mul_lo_u32 v8, v8, 26
	v_mul_f32_e32 v71, 0xbf6f5d39, v97
	v_mov_b32_e32 v70, v71
	ds_write2_b32 v78, v23, v22 offset0:16 offset1:18
	ds_write2_b32 v78, v13, v11 offset0:20 offset1:22
	ds_write_b32 v78, v7 offset:96
	v_or_b32_e32 v7, v8, v15
	v_add_f32_e32 v20, v20, v88
	v_fmac_f32_e32 v70, 0xbeb58ec6, v96
	v_add_f32_e32 v16, v16, v90
	v_fma_f32 v71, v96, s11, -v71
	v_add_f32_e32 v17, v17, v92
	v_fmac_f32_e32 v72, 0x3df6dbef, v96
	v_lshl_add_u32 v75, v7, 2, 0
	v_add_f32_e32 v70, v70, v89
	v_add_f32_e32 v71, v71, v91
	;; [unrolled: 1-line block ×4, first 2 shown]
	ds_write2_b32 v75, v24, v84 offset1:2
	ds_write2_b32 v75, v21, v83 offset0:4 offset1:6
	ds_write2_b32 v75, v19, v20 offset0:8 offset1:10
	;; [unrolled: 1-line block ×5, first 2 shown]
	ds_write_b32 v75, v9 offset:96
	s_waitcnt lgkmcnt(0)
	; wave barrier
	s_waitcnt lgkmcnt(0)
	ds_read2_b32 v[7:8], v32 offset1:156
	ds_read_b32 v81, v25
	ds_read_b32 v76, v40
	;; [unrolled: 1-line block ×5, first 2 shown]
	ds_read2_b32 v[19:20], v27 offset0:164 offset1:216
	ds_read2_b32 v[17:18], v30 offset0:12 offset1:64
	;; [unrolled: 1-line block ×8, first 2 shown]
	ds_read_b32 v83, v36
	ds_read_b32 v96, v29
	ds_read_b32 v89, v32 offset:5200
	s_waitcnt lgkmcnt(0)
	; wave barrier
	s_waitcnt lgkmcnt(0)
	ds_write2_b32 v78, v6, v74 offset1:2
	ds_write2_b32 v78, v53, v54 offset0:4 offset1:6
	ds_write2_b32 v78, v51, v52 offset0:8 offset1:10
	;; [unrolled: 1-line block ×5, first 2 shown]
	ds_write_b32 v78, v5 offset:96
	ds_write2_b32 v75, v48, v56 offset1:2
	ds_write2_b32 v75, v57, v66 offset0:4 offset1:6
	ds_write2_b32 v75, v68, v70 offset0:8 offset1:10
	;; [unrolled: 1-line block ×5, first 2 shown]
	ds_write_b32 v75, v55 offset:96
	v_subrev_u32_e32 v46, 26, v58
	v_cndmask_b32_e64 v99, v46, v58, s[0:1]
	v_mul_i32_i24_e32 v5, 12, v99
	v_mov_b32_e32 v6, 0
	v_lshlrev_b64 v[5:6], 3, v[5:6]
	v_mov_b32_e32 v44, s9
	v_add_co_u32_e64 v5, s[2:3], s8, v5
	v_addc_co_u32_e64 v6, s[2:3], v44, v6, s[2:3]
	s_movk_i32 s2, 0x4f
	s_waitcnt lgkmcnt(0)
	; wave barrier
	s_waitcnt lgkmcnt(0)
	global_load_dwordx4 v[47:50], v[5:6], off offset:192
	global_load_dwordx4 v[51:54], v[5:6], off offset:208
	;; [unrolled: 1-line block ×6, first 2 shown]
	v_mul_lo_u16_sdwa v5, v59, s2 dst_sel:DWORD dst_unused:UNUSED_PAD src0_sel:BYTE_0 src1_sel:DWORD
	v_lshrrev_b16_e32 v98, 11, v5
	v_mul_lo_u16_e32 v5, 26, v98
	v_sub_u16_e32 v97, v59, v5
	v_mov_b32_e32 v5, 12
	v_mul_u32_u24_sdwa v5, v97, v5 dst_sel:DWORD dst_unused:UNUSED_PAD src0_sel:BYTE_0 src1_sel:DWORD
	v_lshlrev_b32_e32 v57, 3, v5
	global_load_dwordx4 v[108:111], v57, s[8:9] offset:192
	global_load_dwordx4 v[112:115], v57, s[8:9] offset:208
	ds_read2_b32 v[5:6], v32 offset1:156
	global_load_dwordx4 v[116:119], v57, s[8:9] offset:240
	global_load_dwordx4 v[120:123], v57, s[8:9] offset:224
	ds_read_b32 v65, v25
	ds_read_b32 v66, v40
	;; [unrolled: 1-line block ×5, first 2 shown]
	ds_read2_b32 v[44:45], v27 offset0:164 offset1:216
	ds_read2_b32 v[55:56], v30 offset0:12 offset1:64
	;; [unrolled: 1-line block ×3, first 2 shown]
	ds_read_b32 v40, v36
	ds_read2_b32 v[132:133], v28 offset0:92 offset1:144
	ds_read2_b32 v[134:135], v33 offset0:68 offset1:120
	ds_read2_b32 v[136:137], v33 offset0:172 offset1:224
	ds_read_b32 v41, v29
	global_load_dwordx4 v[124:127], v57, s[8:9] offset:272
	global_load_dwordx4 v[128:131], v57, s[8:9] offset:256
	v_cmp_lt_u32_e64 s[2:3], 25, v58
	v_lshlrev_b32_e32 v99, 2, v99
	s_waitcnt vmcnt(11) lgkmcnt(4)
	v_mul_f32_e32 v42, v40, v48
	v_fma_f32 v82, v83, v47, -v42
	v_mul_f32_e32 v83, v83, v48
	s_waitcnt vmcnt(10)
	v_mul_f32_e32 v48, v66, v52
	v_fma_f32 v84, v76, v51, -v48
	v_mul_f32_e32 v48, v67, v54
	v_mul_f32_e32 v85, v76, v52
	v_fma_f32 v76, v77, v53, -v48
	s_waitcnt vmcnt(9)
	v_mul_f32_e32 v48, v74, v69
	v_fma_f32 v72, v80, v68, -v48
	v_mul_f32_e32 v73, v80, v69
	v_mul_f32_e32 v48, v75, v71
	v_fmac_f32_e32 v73, v74, v68
	v_fma_f32 v68, v79, v70, -v48
	v_mul_f32_e32 v69, v79, v71
	s_waitcnt vmcnt(8)
	v_mul_f32_e32 v48, v45, v93
	v_fmac_f32_e32 v69, v75, v70
	v_fma_f32 v70, v20, v92, -v48
	v_mul_f32_e32 v71, v20, v93
	v_mul_f32_e32 v20, v56, v95
	v_fmac_f32_e32 v83, v40, v47
	v_mul_f32_e32 v40, v65, v50
	v_fma_f32 v74, v18, v94, -v20
	v_mul_f32_e32 v75, v18, v95
	s_waitcnt vmcnt(7)
	v_mul_f32_e32 v18, v88, v101
	v_fma_f32 v90, v81, v49, -v40
	v_mul_f32_e32 v91, v81, v50
	ds_read2_b32 v[42:43], v31 offset0:4 offset1:108
	ds_read2_b32 v[39:40], v39 offset0:84 offset1:188
	ds_read_b32 v47, v32 offset:5200
	v_fma_f32 v79, v16, v100, -v18
	v_mul_f32_e32 v81, v16, v101
	s_waitcnt lgkmcnt(6)
	v_mul_f32_e32 v16, v133, v103
	v_mul_f32_e32 v77, v77, v54
	v_fmac_f32_e32 v81, v88, v100
	v_fma_f32 v86, v14, v102, -v16
	v_mul_f32_e32 v88, v14, v103
	s_waitcnt vmcnt(6) lgkmcnt(5)
	v_mul_f32_e32 v14, v135, v105
	v_fmac_f32_e32 v77, v67, v53
	v_fmac_f32_e32 v71, v45, v92
	v_fma_f32 v92, v12, v104, -v14
	v_mul_f32_e32 v93, v12, v105
	s_waitcnt lgkmcnt(4)
	v_mul_f32_e32 v12, v137, v107
	s_waitcnt vmcnt(5)
	v_mul_f32_e32 v67, v8, v109
	v_fmac_f32_e32 v75, v56, v94
	v_fma_f32 v94, v10, v106, -v12
	v_mul_f32_e32 v95, v10, v107
	v_mul_f32_e32 v10, v6, v109
	v_fmac_f32_e32 v67, v6, v108
	s_waitcnt lgkmcnt(2)
	v_mul_f32_e32 v6, v42, v111
	v_fma_f32 v57, v23, v110, -v6
	s_waitcnt vmcnt(4)
	v_mul_f32_e32 v6, v43, v113
	v_fma_f32 v53, v24, v112, -v6
	s_waitcnt lgkmcnt(1)
	v_mul_f32_e32 v6, v39, v115
	v_fmac_f32_e32 v91, v65, v49
	v_mul_f32_e32 v65, v23, v111
	v_fma_f32 v49, v21, v114, -v6
	s_waitcnt vmcnt(2)
	v_mul_f32_e32 v6, v40, v121
	v_fmac_f32_e32 v65, v42, v110
	v_fma_f32 v42, v22, v120, -v6
	v_mul_f32_e32 v6, v44, v123
	v_mul_f32_e32 v50, v21, v115
	v_fma_f32 v20, v19, v122, -v6
	v_mul_f32_e32 v6, v55, v117
	v_mul_f32_e32 v54, v24, v113
	v_fmac_f32_e32 v50, v39, v114
	v_mul_f32_e32 v21, v19, v123
	v_fma_f32 v39, v17, v116, -v6
	v_mul_f32_e32 v6, v87, v119
	v_fmac_f32_e32 v54, v43, v112
	v_mul_f32_e32 v43, v22, v121
	v_fmac_f32_e32 v21, v44, v122
	v_fma_f32 v44, v15, v118, -v6
	s_waitcnt vmcnt(0)
	v_mul_f32_e32 v6, v132, v129
	v_fmac_f32_e32 v85, v66, v51
	v_fmac_f32_e32 v43, v40, v120
	v_mul_f32_e32 v40, v17, v117
	v_fma_f32 v51, v13, v128, -v6
	v_mul_f32_e32 v6, v134, v131
	v_fmac_f32_e32 v95, v137, v106
	v_fmac_f32_e32 v40, v55, v116
	v_fma_f32 v55, v11, v130, -v6
	v_mul_f32_e32 v6, v136, v125
	v_fma_f32 v78, v9, v124, -v6
	v_mul_f32_e32 v80, v9, v125
	v_sub_f32_e32 v9, v83, v95
	v_fma_f32 v66, v8, v108, -v10
	v_add_f32_e32 v8, v82, v94
	v_mul_f32_e32 v10, 0xbeedf032, v9
	v_mul_f32_e32 v12, 0xbf52af12, v9
	;; [unrolled: 1-line block ×6, first 2 shown]
	v_fmac_f32_e32 v93, v135, v104
	v_mul_f32_e32 v45, v15, v119
	v_mul_f32_e32 v52, v13, v129
	;; [unrolled: 1-line block ×3, first 2 shown]
	s_waitcnt lgkmcnt(0)
	v_mul_f32_e32 v6, v47, v127
	v_fma_f32 v11, v8, s6, -v10
	v_fmac_f32_e32 v10, 0x3f62ad3f, v8
	v_fma_f32 v13, v8, s7, -v12
	v_fmac_f32_e32 v12, 0x3f116cb1, v8
	;; [unrolled: 2-line block ×6, first 2 shown]
	v_fmac_f32_e32 v45, v87, v118
	v_fma_f32 v87, v89, v126, -v6
	v_add_f32_e32 v6, v7, v82
	v_add_f32_e32 v11, v7, v11
	v_add_f32_e32 v10, v7, v10
	v_add_f32_e32 v13, v7, v13
	v_add_f32_e32 v12, v7, v12
	v_add_f32_e32 v15, v7, v15
	v_add_f32_e32 v14, v7, v14
	v_add_f32_e32 v17, v7, v17
	v_add_f32_e32 v16, v7, v16
	v_add_f32_e32 v19, v7, v19
	v_add_f32_e32 v18, v7, v18
	v_add_f32_e32 v22, v7, v22
	v_add_f32_e32 v7, v7, v9
	v_sub_f32_e32 v9, v91, v93
	v_add_f32_e32 v8, v90, v92
	v_mul_f32_e32 v23, 0xbf52af12, v9
	v_fma_f32 v24, v8, s7, -v23
	v_fmac_f32_e32 v23, 0x3f116cb1, v8
	v_add_f32_e32 v10, v23, v10
	v_mul_f32_e32 v23, 0xbf6f5d39, v9
	v_add_f32_e32 v11, v24, v11
	v_fma_f32 v24, v8, s11, -v23
	v_fmac_f32_e32 v23, 0xbeb58ec6, v8
	v_add_f32_e32 v12, v23, v12
	v_mul_f32_e32 v23, 0xbe750f2a, v9
	v_add_f32_e32 v13, v24, v13
	;; [unrolled: 5-line block ×4, first 2 shown]
	v_fma_f32 v24, v8, s10, -v23
	v_fmac_f32_e32 v23, 0x3df6dbef, v8
	v_mul_f32_e32 v9, 0x3eedf032, v9
	v_fmac_f32_e32 v88, v133, v102
	v_add_f32_e32 v18, v23, v18
	v_fma_f32 v23, v8, s6, -v9
	v_fmac_f32_e32 v9, 0x3f62ad3f, v8
	v_add_f32_e32 v7, v9, v7
	v_sub_f32_e32 v9, v85, v88
	v_add_f32_e32 v22, v23, v22
	v_add_f32_e32 v8, v84, v86
	v_mul_f32_e32 v23, 0xbf7e222b, v9
	v_add_f32_e32 v19, v24, v19
	v_fma_f32 v24, v8, s10, -v23
	v_fmac_f32_e32 v23, 0x3df6dbef, v8
	v_add_f32_e32 v10, v23, v10
	v_mul_f32_e32 v23, 0xbe750f2a, v9
	v_add_f32_e32 v11, v24, v11
	v_fma_f32 v24, v8, s13, -v23
	v_fmac_f32_e32 v23, 0xbf788fa5, v8
	;; [unrolled: 5-line block ×5, first 2 shown]
	v_mul_f32_e32 v9, 0xbf29c268, v9
	v_add_f32_e32 v18, v23, v18
	v_fma_f32 v23, v8, s12, -v9
	v_fmac_f32_e32 v9, 0xbf3f9e67, v8
	v_add_f32_e32 v7, v9, v7
	v_sub_f32_e32 v9, v77, v81
	v_add_f32_e32 v22, v23, v22
	v_add_f32_e32 v8, v76, v79
	v_mul_f32_e32 v23, 0xbf6f5d39, v9
	v_add_f32_e32 v19, v24, v19
	v_fma_f32 v24, v8, s11, -v23
	v_fmac_f32_e32 v23, 0xbeb58ec6, v8
	v_add_f32_e32 v10, v23, v10
	v_mul_f32_e32 v23, 0x3f29c268, v9
	v_add_f32_e32 v11, v24, v11
	v_fma_f32 v24, v8, s12, -v23
	v_fmac_f32_e32 v23, 0xbf3f9e67, v8
	v_add_f32_e32 v12, v23, v12
	v_mul_f32_e32 v23, 0x3eedf032, v9
	v_add_f32_e32 v13, v24, v13
	v_fma_f32 v24, v8, s6, -v23
	v_fmac_f32_e32 v23, 0x3f62ad3f, v8
	v_add_f32_e32 v14, v23, v14
	v_mul_f32_e32 v23, 0xbf7e222b, v9
	v_add_f32_e32 v15, v24, v15
	v_fma_f32 v24, v8, s10, -v23
	v_fmac_f32_e32 v23, 0x3df6dbef, v8
	v_add_f32_e32 v16, v23, v16
	v_mul_f32_e32 v23, 0x3e750f2a, v9
	v_add_f32_e32 v17, v24, v17
	v_fma_f32 v24, v8, s13, -v23
	v_fmac_f32_e32 v23, 0xbf788fa5, v8
	v_mul_f32_e32 v9, 0x3f52af12, v9
	v_add_f32_e32 v18, v23, v18
	v_fma_f32 v23, v8, s7, -v9
	v_fmac_f32_e32 v9, 0x3f116cb1, v8
	v_add_f32_e32 v7, v9, v7
	v_sub_f32_e32 v9, v73, v75
	v_add_f32_e32 v22, v23, v22
	v_add_f32_e32 v8, v72, v74
	v_mul_f32_e32 v23, 0xbf29c268, v9
	v_add_f32_e32 v19, v24, v19
	v_fma_f32 v24, v8, s12, -v23
	v_fmac_f32_e32 v23, 0xbf3f9e67, v8
	v_add_f32_e32 v10, v23, v10
	v_mul_f32_e32 v23, 0x3f7e222b, v9
	v_add_f32_e32 v11, v24, v11
	v_fma_f32 v24, v8, s10, -v23
	v_fmac_f32_e32 v23, 0x3df6dbef, v8
	;; [unrolled: 5-line block ×3, first 2 shown]
	v_add_f32_e32 v14, v12, v14
	v_mul_f32_e32 v12, 0x3e750f2a, v9
	v_mul_f32_e32 v89, v89, v127
	v_add_f32_e32 v15, v24, v15
	v_fma_f32 v24, v8, s13, -v12
	v_fmac_f32_e32 v12, 0xbf788fa5, v8
	v_fmac_f32_e32 v89, v47, v126
	v_add_f32_e32 v47, v12, v16
	v_mul_f32_e32 v12, 0x3eedf032, v9
	v_fma_f32 v16, v8, s6, -v12
	v_fmac_f32_e32 v12, 0x3f62ad3f, v8
	v_mul_f32_e32 v9, 0xbf6f5d39, v9
	v_add_f32_e32 v18, v12, v18
	v_fma_f32 v12, v8, s11, -v9
	v_fmac_f32_e32 v9, 0xbeb58ec6, v8
	v_add_f32_e32 v7, v9, v7
	v_sub_f32_e32 v9, v69, v71
	v_add_f32_e32 v48, v12, v22
	v_add_f32_e32 v8, v68, v70
	v_mul_f32_e32 v12, 0xbe750f2a, v9
	v_add_f32_e32 v19, v16, v19
	v_fma_f32 v16, v8, s13, -v12
	v_fmac_f32_e32 v12, 0xbf788fa5, v8
	v_add_f32_e32 v12, v12, v10
	v_mul_f32_e32 v10, 0x3eedf032, v9
	v_add_f32_e32 v106, v16, v11
	v_fma_f32 v11, v8, s6, -v10
	v_fmac_f32_e32 v10, 0x3f62ad3f, v8
	;; [unrolled: 5-line block ×3, first 2 shown]
	v_add_f32_e32 v24, v24, v17
	v_add_f32_e32 v17, v10, v14
	v_mul_f32_e32 v10, 0x3f52af12, v9
	v_add_f32_e32 v105, v11, v15
	v_fma_f32 v11, v8, s7, -v10
	v_fmac_f32_e32 v10, 0x3f116cb1, v8
	v_add_f32_e32 v22, v10, v47
	v_mul_f32_e32 v10, 0xbf6f5d39, v9
	v_add_f32_e32 v102, v11, v24
	v_fma_f32 v11, v8, s11, -v10
	v_fmac_f32_e32 v10, 0xbeb58ec6, v8
	v_mul_f32_e32 v9, 0x3f7e222b, v9
	v_add_f32_e32 v23, v10, v18
	v_fma_f32 v10, v8, s10, -v9
	v_fmac_f32_e32 v9, 0x3df6dbef, v8
	v_add_f32_e32 v101, v9, v7
	v_add_f32_e32 v7, v96, v66
	v_add_f32_e32 v7, v7, v57
	v_add_f32_e32 v7, v7, v53
	v_add_f32_e32 v7, v7, v49
	v_add_f32_e32 v7, v7, v42
	v_add_f32_e32 v7, v7, v20
	v_add_f32_e32 v7, v7, v39
	v_add_f32_e32 v7, v7, v44
	v_add_f32_e32 v7, v7, v51
	v_add_f32_e32 v7, v7, v55
	v_add_f32_e32 v7, v7, v78
	v_sub_f32_e32 v8, v67, v89
	v_add_f32_e32 v103, v11, v19
	v_add_f32_e32 v13, v7, v87
	;; [unrolled: 1-line block ×3, first 2 shown]
	v_mul_f32_e32 v9, 0xbeedf032, v8
	v_mul_f32_e32 v11, 0xbf52af12, v8
	;; [unrolled: 1-line block ×6, first 2 shown]
	v_fmac_f32_e32 v80, v136, v124
	v_add_f32_e32 v100, v10, v48
	v_fma_f32 v10, v7, s6, -v9
	v_fmac_f32_e32 v9, 0x3f62ad3f, v7
	v_fma_f32 v14, v7, s7, -v11
	v_fmac_f32_e32 v11, 0x3f116cb1, v7
	;; [unrolled: 2-line block ×6, first 2 shown]
	v_add_f32_e32 v10, v96, v10
	v_add_f32_e32 v9, v96, v9
	;; [unrolled: 1-line block ×12, first 2 shown]
	v_sub_f32_e32 v96, v65, v80
	v_add_f32_e32 v8, v57, v78
	v_mul_f32_e32 v108, 0xbf52af12, v96
	v_fma_f32 v109, v8, s7, -v108
	v_fmac_f32_e32 v108, 0x3f116cb1, v8
	v_add_f32_e32 v9, v108, v9
	v_mul_f32_e32 v108, 0xbf6f5d39, v96
	v_add_f32_e32 v10, v109, v10
	v_fma_f32 v109, v8, s11, -v108
	v_fmac_f32_e32 v108, 0xbeb58ec6, v8
	v_add_f32_e32 v11, v108, v11
	v_mul_f32_e32 v108, 0xbe750f2a, v96
	v_add_f32_e32 v14, v109, v14
	;; [unrolled: 5-line block ×4, first 2 shown]
	v_fma_f32 v109, v8, s10, -v108
	v_fmac_f32_e32 v108, 0x3df6dbef, v8
	v_mul_f32_e32 v96, 0x3eedf032, v96
	v_fmac_f32_e32 v56, v134, v130
	v_add_f32_e32 v47, v108, v47
	v_fma_f32 v108, v8, s6, -v96
	v_fmac_f32_e32 v96, 0x3f62ad3f, v8
	v_add_f32_e32 v7, v96, v7
	v_sub_f32_e32 v96, v54, v56
	v_add_f32_e32 v107, v108, v107
	v_add_f32_e32 v8, v53, v55
	v_mul_f32_e32 v108, 0xbf7e222b, v96
	v_add_f32_e32 v48, v109, v48
	v_fma_f32 v109, v8, s10, -v108
	v_fmac_f32_e32 v108, 0x3df6dbef, v8
	v_add_f32_e32 v9, v108, v9
	v_mul_f32_e32 v108, 0xbe750f2a, v96
	v_add_f32_e32 v10, v109, v10
	v_fma_f32 v109, v8, s13, -v108
	v_fmac_f32_e32 v108, 0xbf788fa5, v8
	;; [unrolled: 5-line block ×5, first 2 shown]
	v_mul_f32_e32 v96, 0xbf29c268, v96
	v_fmac_f32_e32 v52, v132, v128
	v_add_f32_e32 v47, v108, v47
	v_fma_f32 v108, v8, s12, -v96
	v_fmac_f32_e32 v96, 0xbf3f9e67, v8
	v_add_f32_e32 v7, v96, v7
	v_sub_f32_e32 v96, v50, v52
	v_add_f32_e32 v107, v108, v107
	v_add_f32_e32 v8, v49, v51
	v_mul_f32_e32 v108, 0xbf6f5d39, v96
	v_add_f32_e32 v48, v109, v48
	v_fma_f32 v109, v8, s11, -v108
	v_fmac_f32_e32 v108, 0xbeb58ec6, v8
	v_add_f32_e32 v9, v108, v9
	v_mul_f32_e32 v108, 0x3f29c268, v96
	v_add_f32_e32 v10, v109, v10
	v_fma_f32 v109, v8, s12, -v108
	v_fmac_f32_e32 v108, 0xbf3f9e67, v8
	;; [unrolled: 5-line block ×5, first 2 shown]
	v_mul_f32_e32 v96, 0x3f52af12, v96
	v_add_f32_e32 v47, v108, v47
	v_fma_f32 v108, v8, s7, -v96
	v_fmac_f32_e32 v96, 0x3f116cb1, v8
	v_add_f32_e32 v7, v96, v7
	v_sub_f32_e32 v96, v43, v45
	v_add_f32_e32 v107, v108, v107
	v_add_f32_e32 v8, v42, v44
	v_mul_f32_e32 v108, 0xbf29c268, v96
	v_add_f32_e32 v48, v109, v48
	v_fma_f32 v109, v8, s12, -v108
	v_fmac_f32_e32 v108, 0xbf3f9e67, v8
	v_add_f32_e32 v9, v108, v9
	v_mul_f32_e32 v108, 0x3f7e222b, v96
	v_add_f32_e32 v10, v109, v10
	v_fma_f32 v109, v8, s10, -v108
	v_fmac_f32_e32 v108, 0x3df6dbef, v8
	v_add_f32_e32 v11, v108, v11
	v_mul_f32_e32 v108, 0xbf52af12, v96
	v_add_f32_e32 v14, v109, v14
	v_fma_f32 v109, v8, s7, -v108
	v_add_f32_e32 v109, v109, v18
	v_fmac_f32_e32 v108, 0x3f116cb1, v8
	v_mul_f32_e32 v18, 0x3e750f2a, v96
	v_add_f32_e32 v15, v108, v15
	v_fma_f32 v108, v8, s13, -v18
	v_fmac_f32_e32 v18, 0xbf788fa5, v8
	v_add_f32_e32 v110, v18, v19
	v_mul_f32_e32 v18, 0x3eedf032, v96
	v_fma_f32 v19, v8, s6, -v18
	v_fmac_f32_e32 v18, 0x3f62ad3f, v8
	v_add_f32_e32 v112, v18, v47
	v_mul_f32_e32 v18, 0xbf6f5d39, v96
	v_add_f32_e32 v111, v19, v48
	v_fma_f32 v19, v8, s11, -v18
	v_fmac_f32_e32 v18, 0xbeb58ec6, v8
	v_sub_f32_e32 v114, v21, v40
	v_add_f32_e32 v96, v19, v107
	v_add_f32_e32 v107, v18, v7
	;; [unrolled: 1-line block ×3, first 2 shown]
	v_mul_f32_e32 v7, 0xbe750f2a, v114
	v_fma_f32 v8, v113, s13, -v7
	v_fmac_f32_e32 v7, 0xbf788fa5, v113
	v_add_f32_e32 v48, v7, v9
	v_mul_f32_e32 v7, 0x3eedf032, v114
	v_add_f32_e32 v6, v6, v90
	v_add_f32_e32 v108, v108, v24
	;; [unrolled: 1-line block ×3, first 2 shown]
	v_fma_f32 v8, v113, s6, -v7
	v_fmac_f32_e32 v7, 0x3f62ad3f, v113
	v_add_f32_e32 v6, v6, v84
	v_add_f32_e32 v47, v7, v11
	v_mul_f32_e32 v7, 0xbf29c268, v114
	v_add_f32_e32 v6, v6, v76
	v_add_f32_e32 v18, v8, v14
	v_fma_f32 v8, v113, s12, -v7
	v_add_f32_e32 v6, v6, v72
	v_add_f32_e32 v19, v8, v109
	v_mul_f32_e32 v8, 0x3f52af12, v114
	v_add_f32_e32 v6, v6, v68
	v_fma_f32 v9, v113, s7, -v8
	v_add_f32_e32 v6, v6, v70
	v_add_f32_e32 v14, v9, v108
	v_mul_f32_e32 v9, 0xbf6f5d39, v114
	v_add_f32_e32 v6, v6, v74
	v_fmac_f32_e32 v7, 0xbf3f9e67, v113
	v_fma_f32 v10, v113, s11, -v9
	v_mul_f32_e32 v11, 0x3f7e222b, v114
	v_add_f32_e32 v6, v6, v79
	v_add_f32_e32 v7, v7, v15
	;; [unrolled: 1-line block ×3, first 2 shown]
	v_fma_f32 v10, v113, s10, -v11
	v_add_f32_e32 v6, v6, v86
	v_add_f32_e32 v10, v10, v96
	v_mov_b32_e32 v96, 0x548
	v_add_f32_e32 v6, v6, v92
	v_cndmask_b32_e64 v96, 0, v96, s[2:3]
	v_add_f32_e32 v6, v6, v94
	v_add3_u32 v99, 0, v96, v99
	s_waitcnt lgkmcnt(0)
	; wave barrier
	ds_write2_b32 v99, v6, v106 offset1:26
	ds_write2_b32 v99, v104, v105 offset0:52 offset1:78
	ds_write2_b32 v99, v102, v103 offset0:104 offset1:130
	;; [unrolled: 1-line block ×4, first 2 shown]
	v_add_u32_e32 v100, 0x400, v99
	ds_write2_b32 v100, v17, v16 offset0:4 offset1:30
	ds_write_b32 v99, v12 offset:1248
	v_mov_b32_e32 v12, 2
	v_mul_u32_u24_e32 v6, 0x548, v98
	v_lshlrev_b32_sdwa v12, v12, v97 dst_sel:DWORD dst_unused:UNUSED_PAD src0_sel:DWORD src1_sel:BYTE_0
	v_fmac_f32_e32 v8, 0x3f116cb1, v113
	v_fmac_f32_e32 v9, 0xbeb58ec6, v113
	;; [unrolled: 1-line block ×3, first 2 shown]
	v_add3_u32 v103, 0, v6, v12
	v_add_f32_e32 v8, v8, v110
	v_add_f32_e32 v9, v9, v112
	;; [unrolled: 1-line block ×3, first 2 shown]
	v_add_u32_e32 v109, 0x400, v103
	ds_write2_b32 v103, v13, v24 offset1:26
	ds_write2_b32 v103, v18, v19 offset0:52 offset1:78
	ds_write2_b32 v103, v14, v15 offset0:104 offset1:130
	ds_write2_b32 v103, v10, v11 offset0:156 offset1:182
	ds_write2_b32 v103, v9, v8 offset0:208 offset1:234
	ds_write2_b32 v109, v7, v47 offset0:4 offset1:30
	ds_write_b32 v103, v48 offset:1248
	s_waitcnt lgkmcnt(0)
	; wave barrier
	s_waitcnt lgkmcnt(0)
	ds_read2_b32 v[8:9], v31 offset0:82 offset1:134
	ds_read2_b32 v[10:11], v27 offset0:164 offset1:216
	;; [unrolled: 1-line block ×6, first 2 shown]
	v_lshl_add_u32 v107, v61, 2, 0
	ds_read_b32 v98, v32
	ds_read_b32 v101, v29
	;; [unrolled: 1-line block ×4, first 2 shown]
	ds_read2_b32 v[24:25], v27 offset0:34 offset1:86
	ds_read2_b32 v[22:23], v30 offset0:116 offset1:168
	;; [unrolled: 1-line block ×3, first 2 shown]
	v_lshl_add_u32 v108, v63, 2, 0
	ds_read_b32 v102, v36
	ds_read_b32 v106, v108
	v_sub_u32_e32 v111, 0, v35
	v_sub_u32_e32 v35, 0, v38
	;; [unrolled: 1-line block ×3, first 2 shown]
	v_add_u32_e32 v112, v34, v35
                                        ; implicit-def: $vgpr96
                                        ; implicit-def: $vgpr97
	s_and_saveexec_b64 s[2:3], s[0:1]
	s_cbranch_execz .LBB0_15
; %bb.14:
	ds_read_b32 v48, v32 offset:2600
	ds_read_b32 v96, v32 offset:3952
	ds_read_b32 v47, v112
	ds_read_b32 v97, v32 offset:5304
.LBB0_15:
	s_or_b64 exec, exec, s[2:3]
	v_add_f32_e32 v34, v5, v83
	v_add_f32_e32 v34, v34, v91
	;; [unrolled: 1-line block ×10, first 2 shown]
	v_sub_f32_e32 v36, v82, v94
	v_add_f32_e32 v34, v34, v93
	v_mul_f32_e32 v37, 0xbeedf032, v36
	v_mul_f32_e32 v82, 0xbf52af12, v36
	;; [unrolled: 1-line block ×6, first 2 shown]
	v_add_f32_e32 v34, v34, v95
	v_add_f32_e32 v35, v83, v95
	v_mov_b32_e32 v38, v37
	v_mov_b32_e32 v83, v82
	;; [unrolled: 1-line block ×6, first 2 shown]
	v_fmac_f32_e32 v38, 0x3f62ad3f, v35
	v_fma_f32 v37, v35, s6, -v37
	v_fmac_f32_e32 v83, 0x3f116cb1, v35
	v_fma_f32 v82, v35, s7, -v82
	;; [unrolled: 2-line block ×6, first 2 shown]
	v_sub_f32_e32 v36, v90, v92
	v_add_f32_e32 v38, v5, v38
	v_add_f32_e32 v37, v5, v37
	v_add_f32_e32 v83, v5, v83
	v_add_f32_e32 v82, v5, v82
	v_add_f32_e32 v95, v5, v95
	v_add_f32_e32 v94, v5, v94
	v_add_f32_e32 v114, v5, v114
	v_add_f32_e32 v113, v5, v113
	v_add_f32_e32 v116, v5, v116
	v_add_f32_e32 v115, v5, v115
	v_add_f32_e32 v117, v5, v117
	v_add_f32_e32 v5, v5, v35
	v_add_f32_e32 v35, v91, v93
	v_mul_f32_e32 v90, 0xbf52af12, v36
	v_mov_b32_e32 v91, v90
	v_fma_f32 v90, v35, s7, -v90
	v_fmac_f32_e32 v91, 0x3f116cb1, v35
	v_add_f32_e32 v37, v90, v37
	v_mul_f32_e32 v90, 0xbf6f5d39, v36
	v_add_f32_e32 v38, v91, v38
	v_mov_b32_e32 v91, v90
	v_fma_f32 v90, v35, s11, -v90
	v_fmac_f32_e32 v91, 0xbeb58ec6, v35
	v_add_f32_e32 v82, v90, v82
	v_mul_f32_e32 v90, 0xbe750f2a, v36
	v_add_f32_e32 v83, v91, v83
	v_mov_b32_e32 v91, v90
	v_fma_f32 v90, v35, s13, -v90
	v_mul_f32_e32 v92, 0x3f29c268, v36
	v_fmac_f32_e32 v91, 0xbf788fa5, v35
	v_add_f32_e32 v90, v90, v94
	v_mov_b32_e32 v93, v92
	v_fma_f32 v92, v35, s12, -v92
	v_mul_f32_e32 v94, 0x3f7e222b, v36
	v_mul_f32_e32 v36, 0x3eedf032, v36
	v_add_f32_e32 v91, v91, v95
	v_add_f32_e32 v92, v92, v113
	v_mov_b32_e32 v95, v94
	v_mov_b32_e32 v113, v36
	v_fmac_f32_e32 v93, 0xbf3f9e67, v35
	v_fmac_f32_e32 v95, 0x3df6dbef, v35
	v_fma_f32 v94, v35, s10, -v94
	v_fmac_f32_e32 v113, 0x3f62ad3f, v35
	v_fma_f32 v35, v35, s6, -v36
	v_sub_f32_e32 v36, v84, v86
	v_add_f32_e32 v5, v35, v5
	v_add_f32_e32 v35, v85, v88
	v_mul_f32_e32 v84, 0xbf7e222b, v36
	v_mov_b32_e32 v85, v84
	v_fma_f32 v84, v35, s10, -v84
	v_fmac_f32_e32 v85, 0x3df6dbef, v35
	v_add_f32_e32 v37, v84, v37
	v_mul_f32_e32 v84, 0xbe750f2a, v36
	v_add_f32_e32 v38, v85, v38
	v_mov_b32_e32 v85, v84
	v_fma_f32 v84, v35, s13, -v84
	v_fmac_f32_e32 v85, 0xbf788fa5, v35
	v_add_f32_e32 v82, v84, v82
	v_mul_f32_e32 v84, 0x3f6f5d39, v36
	v_add_f32_e32 v83, v85, v83
	v_mov_b32_e32 v85, v84
	v_fma_f32 v84, v35, s11, -v84
	v_mul_f32_e32 v86, 0x3eedf032, v36
	v_fmac_f32_e32 v85, 0xbeb58ec6, v35
	v_add_f32_e32 v84, v84, v90
	v_mov_b32_e32 v88, v86
	v_fma_f32 v86, v35, s6, -v86
	v_mul_f32_e32 v90, 0xbf52af12, v36
	v_mul_f32_e32 v36, 0xbf29c268, v36
	v_add_f32_e32 v85, v85, v91
	v_add_f32_e32 v86, v86, v92
	v_mov_b32_e32 v91, v90
	v_mov_b32_e32 v92, v36
	v_fmac_f32_e32 v88, 0x3f62ad3f, v35
	v_fmac_f32_e32 v91, 0x3f116cb1, v35
	v_fma_f32 v90, v35, s7, -v90
	v_fmac_f32_e32 v92, 0xbf3f9e67, v35
	v_fma_f32 v35, v35, s12, -v36
	v_sub_f32_e32 v36, v76, v79
	v_add_f32_e32 v5, v35, v5
	v_add_f32_e32 v35, v77, v81
	v_mul_f32_e32 v76, 0xbf6f5d39, v36
	v_mov_b32_e32 v77, v76
	v_fma_f32 v76, v35, s11, -v76
	v_fmac_f32_e32 v77, 0xbeb58ec6, v35
	v_add_f32_e32 v37, v76, v37
	v_mul_f32_e32 v76, 0x3f29c268, v36
	v_add_f32_e32 v38, v77, v38
	v_mov_b32_e32 v77, v76
	v_fma_f32 v76, v35, s12, -v76
	v_mul_f32_e32 v79, 0x3eedf032, v36
	v_fmac_f32_e32 v77, 0xbf3f9e67, v35
	v_add_f32_e32 v76, v76, v82
	v_mov_b32_e32 v81, v79
	v_fma_f32 v79, v35, s6, -v79
	v_mul_f32_e32 v82, 0xbf7e222b, v36
	v_add_f32_e32 v77, v77, v83
	v_fmac_f32_e32 v81, 0x3f62ad3f, v35
	v_add_f32_e32 v79, v79, v84
	v_mov_b32_e32 v83, v82
	v_fma_f32 v82, v35, s10, -v82
	v_mul_f32_e32 v84, 0x3e750f2a, v36
	v_mul_f32_e32 v36, 0x3f52af12, v36
	v_add_f32_e32 v81, v81, v85
	v_add_f32_e32 v82, v82, v86
	v_mov_b32_e32 v85, v84
	v_mov_b32_e32 v86, v36
	v_fmac_f32_e32 v83, 0x3df6dbef, v35
	v_fmac_f32_e32 v85, 0xbf788fa5, v35
	v_fma_f32 v84, v35, s13, -v84
	v_fmac_f32_e32 v86, 0x3f116cb1, v35
	v_fma_f32 v35, v35, s7, -v36
	v_sub_f32_e32 v36, v72, v74
	v_add_f32_e32 v5, v35, v5
	v_add_f32_e32 v35, v73, v75
	v_mul_f32_e32 v72, 0xbf29c268, v36
	v_mov_b32_e32 v73, v72
	v_fma_f32 v72, v35, s12, -v72
	v_fmac_f32_e32 v73, 0xbf3f9e67, v35
	v_add_f32_e32 v37, v72, v37
	v_mul_f32_e32 v72, 0x3f7e222b, v36
	v_add_f32_e32 v38, v73, v38
	v_mov_b32_e32 v73, v72
	v_fma_f32 v72, v35, s10, -v72
	v_mul_f32_e32 v74, 0xbf52af12, v36
	v_fmac_f32_e32 v73, 0x3df6dbef, v35
	v_add_f32_e32 v72, v72, v76
	v_mov_b32_e32 v75, v74
	v_fma_f32 v74, v35, s7, -v74
	v_mul_f32_e32 v76, 0x3e750f2a, v36
	v_add_f32_e32 v73, v73, v77
	v_fmac_f32_e32 v75, 0x3f116cb1, v35
	v_add_f32_e32 v74, v74, v79
	v_mov_b32_e32 v77, v76
	v_fma_f32 v76, v35, s13, -v76
	v_mul_f32_e32 v79, 0x3eedf032, v36
	v_mul_f32_e32 v36, 0xbf6f5d39, v36
	v_add_f32_e32 v75, v75, v81
	v_add_f32_e32 v76, v76, v82
	v_mov_b32_e32 v81, v79
	v_mov_b32_e32 v82, v36
	v_fmac_f32_e32 v77, 0xbf788fa5, v35
	v_fmac_f32_e32 v81, 0x3f62ad3f, v35
	v_fma_f32 v79, v35, s6, -v79
	v_fmac_f32_e32 v82, 0xbeb58ec6, v35
	v_fma_f32 v35, v35, s11, -v36
	v_sub_f32_e32 v36, v68, v70
	v_add_f32_e32 v5, v35, v5
	v_add_f32_e32 v35, v69, v71
	v_mul_f32_e32 v68, 0xbe750f2a, v36
	v_mov_b32_e32 v69, v68
	v_fma_f32 v68, v35, s13, -v68
	v_fmac_f32_e32 v69, 0xbf788fa5, v35
	v_add_f32_e32 v37, v68, v37
	v_mul_f32_e32 v68, 0x3eedf032, v36
	v_add_f32_e32 v38, v69, v38
	v_mov_b32_e32 v69, v68
	v_fma_f32 v68, v35, s6, -v68
	v_mul_f32_e32 v70, 0xbf29c268, v36
	v_fmac_f32_e32 v69, 0x3f62ad3f, v35
	v_add_f32_e32 v68, v68, v72
	v_mov_b32_e32 v71, v70
	v_fma_f32 v70, v35, s12, -v70
	v_mul_f32_e32 v72, 0x3f52af12, v36
	v_add_f32_e32 v69, v69, v73
	v_fmac_f32_e32 v71, 0xbf3f9e67, v35
	v_add_f32_e32 v70, v70, v74
	v_mov_b32_e32 v73, v72
	v_fma_f32 v72, v35, s7, -v72
	v_mul_f32_e32 v74, 0xbf6f5d39, v36
	v_mul_f32_e32 v36, 0x3f7e222b, v36
	v_add_f32_e32 v71, v71, v75
	v_add_f32_e32 v72, v72, v76
	v_mov_b32_e32 v75, v74
	v_mov_b32_e32 v76, v36
	v_fmac_f32_e32 v73, 0x3f116cb1, v35
	v_fmac_f32_e32 v75, 0xbeb58ec6, v35
	v_fma_f32 v74, v35, s11, -v74
	v_fmac_f32_e32 v76, 0x3df6dbef, v35
	v_fma_f32 v35, v35, s10, -v36
	v_add_f32_e32 v35, v35, v5
	v_add_f32_e32 v5, v41, v67
	;; [unrolled: 1-line block ×26, first 2 shown]
	v_sub_f32_e32 v66, v66, v87
	v_add_f32_e32 v77, v77, v83
	v_add_f32_e32 v81, v81, v85
	;; [unrolled: 1-line block ×6, first 2 shown]
	v_mul_f32_e32 v67, 0xbeedf032, v66
	v_mul_f32_e32 v79, 0xbf52af12, v66
	;; [unrolled: 1-line block ×6, first 2 shown]
	v_add_f32_e32 v73, v73, v77
	v_add_f32_e32 v75, v75, v81
	v_mov_b32_e32 v77, v67
	v_mov_b32_e32 v81, v79
	;; [unrolled: 1-line block ×6, first 2 shown]
	v_fmac_f32_e32 v77, 0x3f62ad3f, v5
	v_fma_f32 v67, v5, s6, -v67
	v_fmac_f32_e32 v81, 0x3f116cb1, v5
	v_fma_f32 v79, v5, s7, -v79
	;; [unrolled: 2-line block ×6, first 2 shown]
	v_sub_f32_e32 v57, v57, v78
	v_add_f32_e32 v77, v41, v77
	v_add_f32_e32 v67, v41, v67
	;; [unrolled: 1-line block ×13, first 2 shown]
	v_mul_f32_e32 v65, 0xbf52af12, v57
	v_mov_b32_e32 v66, v65
	v_fma_f32 v65, v41, s7, -v65
	v_fmac_f32_e32 v66, 0x3f116cb1, v41
	v_add_f32_e32 v65, v65, v67
	v_mul_f32_e32 v67, 0xbf6f5d39, v57
	v_add_f32_e32 v66, v66, v77
	v_mov_b32_e32 v77, v67
	v_fma_f32 v67, v41, s11, -v67
	v_mul_f32_e32 v78, 0xbe750f2a, v57
	v_fmac_f32_e32 v77, 0xbeb58ec6, v41
	v_add_f32_e32 v67, v67, v79
	v_mov_b32_e32 v79, v78
	v_fma_f32 v78, v41, s13, -v78
	v_mul_f32_e32 v80, 0x3f29c268, v57
	v_add_f32_e32 v77, v77, v81
	v_fmac_f32_e32 v79, 0xbf788fa5, v41
	v_add_f32_e32 v78, v78, v82
	v_mov_b32_e32 v81, v80
	v_fma_f32 v80, v41, s12, -v80
	v_mul_f32_e32 v82, 0x3f7e222b, v57
	v_mul_f32_e32 v57, 0x3eedf032, v57
	v_add_f32_e32 v79, v79, v83
	v_add_f32_e32 v80, v80, v84
	v_mov_b32_e32 v83, v82
	v_mov_b32_e32 v84, v57
	v_fmac_f32_e32 v81, 0xbf3f9e67, v41
	v_fmac_f32_e32 v83, 0x3df6dbef, v41
	v_fma_f32 v82, v41, s10, -v82
	v_fmac_f32_e32 v84, 0x3f62ad3f, v41
	v_fma_f32 v41, v41, s6, -v57
	v_sub_f32_e32 v53, v53, v55
	v_add_f32_e32 v5, v41, v5
	v_add_f32_e32 v41, v54, v56
	v_mul_f32_e32 v54, 0xbf7e222b, v53
	v_mov_b32_e32 v55, v54
	v_fma_f32 v54, v41, s10, -v54
	v_mul_f32_e32 v56, 0xbe750f2a, v53
	v_fmac_f32_e32 v55, 0x3df6dbef, v41
	v_add_f32_e32 v54, v54, v65
	v_mov_b32_e32 v57, v56
	v_fma_f32 v56, v41, s13, -v56
	v_mul_f32_e32 v65, 0x3f6f5d39, v53
	v_add_f32_e32 v55, v55, v66
	v_fmac_f32_e32 v57, 0xbf788fa5, v41
	v_add_f32_e32 v56, v56, v67
	v_mov_b32_e32 v66, v65
	v_fma_f32 v65, v41, s11, -v65
	v_mul_f32_e32 v67, 0x3eedf032, v53
	v_add_f32_e32 v57, v57, v77
	v_fmac_f32_e32 v66, 0xbeb58ec6, v41
	v_add_f32_e32 v65, v65, v78
	v_mov_b32_e32 v77, v67
	v_fma_f32 v67, v41, s6, -v67
	v_mul_f32_e32 v78, 0xbf52af12, v53
	v_mul_f32_e32 v53, 0xbf29c268, v53
	v_add_f32_e32 v66, v66, v79
	v_add_f32_e32 v67, v67, v80
	v_mov_b32_e32 v79, v78
	v_mov_b32_e32 v80, v53
	v_fmac_f32_e32 v77, 0x3f62ad3f, v41
	v_fmac_f32_e32 v79, 0x3f116cb1, v41
	v_fma_f32 v78, v41, s7, -v78
	v_fmac_f32_e32 v80, 0xbf3f9e67, v41
	v_fma_f32 v41, v41, s12, -v53
	v_sub_f32_e32 v49, v49, v51
	v_add_f32_e32 v5, v41, v5
	v_add_f32_e32 v41, v50, v52
	v_mul_f32_e32 v50, 0xbf6f5d39, v49
	v_mov_b32_e32 v51, v50
	v_fma_f32 v50, v41, s11, -v50
	v_mul_f32_e32 v52, 0x3f29c268, v49
	v_fmac_f32_e32 v51, 0xbeb58ec6, v41
	v_add_f32_e32 v50, v50, v54
	v_mov_b32_e32 v53, v52
	v_fma_f32 v52, v41, s12, -v52
	v_mul_f32_e32 v54, 0x3eedf032, v49
	v_add_f32_e32 v51, v51, v55
	v_fmac_f32_e32 v53, 0xbf3f9e67, v41
	v_add_f32_e32 v52, v52, v56
	v_mov_b32_e32 v55, v54
	v_fma_f32 v54, v41, s6, -v54
	v_mul_f32_e32 v56, 0xbf7e222b, v49
	v_add_f32_e32 v53, v53, v57
	v_fmac_f32_e32 v55, 0x3f62ad3f, v41
	v_add_f32_e32 v54, v54, v65
	v_mov_b32_e32 v57, v56
	v_fma_f32 v56, v41, s10, -v56
	v_mul_f32_e32 v65, 0x3e750f2a, v49
	v_mul_f32_e32 v49, 0x3f52af12, v49
	v_add_f32_e32 v55, v55, v66
	v_add_f32_e32 v56, v56, v67
	v_mov_b32_e32 v66, v65
	v_mov_b32_e32 v67, v49
	v_fmac_f32_e32 v57, 0x3df6dbef, v41
	v_fmac_f32_e32 v66, 0xbf788fa5, v41
	v_fma_f32 v65, v41, s13, -v65
	v_fmac_f32_e32 v67, 0x3f116cb1, v41
	v_fma_f32 v41, v41, s7, -v49
	v_sub_f32_e32 v42, v42, v44
	v_add_f32_e32 v5, v41, v5
	v_add_f32_e32 v41, v43, v45
	v_mul_f32_e32 v45, 0x3f7e222b, v42
	v_mul_f32_e32 v43, 0xbf29c268, v42
	v_mov_b32_e32 v49, v45
	v_mov_b32_e32 v44, v43
	v_fma_f32 v43, v41, s12, -v43
	v_fmac_f32_e32 v49, 0x3df6dbef, v41
	v_fmac_f32_e32 v44, 0xbf3f9e67, v41
	v_add_f32_e32 v43, v43, v50
	v_add_f32_e32 v50, v49, v53
	v_mul_f32_e32 v49, 0xbf52af12, v42
	v_add_f32_e32 v44, v44, v51
	v_fma_f32 v45, v41, s10, -v45
	v_mov_b32_e32 v51, v49
	v_fma_f32 v49, v41, s7, -v49
	v_add_f32_e32 v45, v45, v52
	v_add_f32_e32 v52, v49, v54
	v_mul_f32_e32 v49, 0x3e750f2a, v42
	v_add_f32_e32 v82, v82, v86
	v_mov_b32_e32 v53, v49
	v_fma_f32 v49, v41, s13, -v49
	v_add_f32_e32 v78, v78, v82
	v_fmac_f32_e32 v51, 0x3f116cb1, v41
	v_add_f32_e32 v54, v49, v56
	v_mul_f32_e32 v49, 0x3eedf032, v42
	v_add_f32_e32 v65, v65, v78
	v_add_f32_e32 v51, v51, v55
	v_mov_b32_e32 v55, v49
	v_fma_f32 v49, v41, s6, -v49
	v_mul_f32_e32 v42, 0xbf6f5d39, v42
	v_add_f32_e32 v56, v49, v65
	v_mov_b32_e32 v49, v42
	v_add_f32_e32 v81, v81, v85
	v_add_f32_e32 v84, v84, v88
	v_fmac_f32_e32 v53, 0xbf788fa5, v41
	v_fmac_f32_e32 v55, 0x3f62ad3f, v41
	;; [unrolled: 1-line block ×3, first 2 shown]
	v_fma_f32 v41, v41, s11, -v42
	v_sub_f32_e32 v20, v20, v39
	v_add_f32_e32 v77, v77, v81
	v_add_f32_e32 v80, v80, v84
	v_add_f32_e32 v41, v41, v5
	v_add_f32_e32 v21, v21, v40
	v_mul_f32_e32 v5, 0xbe750f2a, v20
	v_add_f32_e32 v57, v57, v77
	v_add_f32_e32 v67, v67, v80
	v_mov_b32_e32 v39, v5
	v_fma_f32 v5, v21, s13, -v5
	v_add_f32_e32 v53, v53, v57
	v_add_f32_e32 v57, v49, v67
	;; [unrolled: 1-line block ×3, first 2 shown]
	v_mul_f32_e32 v5, 0x3eedf032, v20
	v_mov_b32_e32 v40, v5
	v_mul_f32_e32 v42, 0xbf29c268, v20
	v_add_f32_e32 v83, v83, v87
	v_fmac_f32_e32 v39, 0xbf788fa5, v21
	v_fmac_f32_e32 v40, 0x3f62ad3f, v21
	v_mov_b32_e32 v43, v42
	v_add_f32_e32 v79, v79, v83
	v_add_f32_e32 v39, v39, v44
	;; [unrolled: 1-line block ×3, first 2 shown]
	v_fma_f32 v5, v21, s6, -v5
	v_fmac_f32_e32 v43, 0xbf3f9e67, v21
	v_fma_f32 v42, v21, s12, -v42
	v_mul_f32_e32 v44, 0x3f52af12, v20
	v_mul_f32_e32 v50, 0xbf6f5d39, v20
	v_mul_f32_e32 v20, 0x3f7e222b, v20
	v_add_f32_e32 v66, v66, v79
	v_add_f32_e32 v5, v5, v45
	v_add_f32_e32 v43, v43, v51
	v_add_f32_e32 v42, v42, v52
	v_mov_b32_e32 v45, v44
	v_mov_b32_e32 v51, v50
	;; [unrolled: 1-line block ×3, first 2 shown]
	v_fma_f32 v20, v21, s10, -v20
	v_add_f32_e32 v55, v55, v66
	v_fmac_f32_e32 v45, 0x3f116cb1, v21
	v_fma_f32 v44, v21, s7, -v44
	v_fmac_f32_e32 v51, 0xbeb58ec6, v21
	v_fma_f32 v50, v21, s11, -v50
	v_fmac_f32_e32 v52, 0x3df6dbef, v21
	v_add_f32_e32 v20, v20, v41
	v_add_f32_e32 v45, v45, v53
	;; [unrolled: 1-line block ×6, first 2 shown]
	s_waitcnt lgkmcnt(0)
	; wave barrier
	s_waitcnt lgkmcnt(0)
	ds_write2_b32 v99, v34, v38 offset1:26
	ds_write2_b32 v99, v69, v71 offset0:52 offset1:78
	ds_write2_b32 v99, v73, v75 offset0:104 offset1:130
	;; [unrolled: 1-line block ×5, first 2 shown]
	ds_write_b32 v99, v37 offset:1248
	ds_write2_b32 v103, v36, v39 offset1:26
	ds_write2_b32 v103, v40, v43 offset0:52 offset1:78
	ds_write2_b32 v103, v45, v51 offset0:104 offset1:130
	ds_write2_b32 v103, v52, v20 offset0:156 offset1:182
	ds_write2_b32 v103, v50, v44 offset0:208 offset1:234
	ds_write2_b32 v109, v42, v5 offset0:4 offset1:30
	ds_write_b32 v103, v49 offset:1248
	v_add_u32_e32 v20, v26, v110
	s_waitcnt lgkmcnt(0)
	; wave barrier
	s_waitcnt lgkmcnt(0)
	ds_read2_b32 v[36:37], v31 offset0:82 offset1:134
	ds_read2_b32 v[38:39], v27 offset0:164 offset1:216
	;; [unrolled: 1-line block ×3, first 2 shown]
	v_add_u32_e32 v0, v0, v111
	ds_read2_b32 v[40:41], v31 offset0:186 offset1:238
	ds_read2_b32 v[44:45], v30 offset0:12 offset1:64
	;; [unrolled: 1-line block ×3, first 2 shown]
	ds_read_b32 v51, v32
	ds_read_b32 v52, v29
	;; [unrolled: 1-line block ×4, first 2 shown]
	ds_read2_b32 v[28:29], v27 offset0:34 offset1:86
	ds_read2_b32 v[30:31], v30 offset0:116 offset1:168
	;; [unrolled: 1-line block ×3, first 2 shown]
	ds_read_b32 v53, v0
	ds_read_b32 v33, v108
                                        ; implicit-def: $vgpr0
                                        ; implicit-def: $vgpr50
	s_and_saveexec_b64 s[2:3], s[0:1]
	s_cbranch_execz .LBB0_17
; %bb.16:
	ds_read_b32 v49, v32 offset:2600
	ds_read_b32 v0, v32 offset:3952
	ds_read_b32 v5, v112
	ds_read_b32 v50, v32 offset:5304
	v_mov_b32_e32 v46, v64
.LBB0_17:
	s_or_b64 exec, exec, s[2:3]
	s_and_saveexec_b64 s[0:1], vcc
	s_cbranch_execz .LBB0_20
; %bb.18:
	v_mul_i32_i24_e32 v20, 3, v63
	v_mov_b32_e32 v21, 0
	v_lshlrev_b64 v[56:57], 3, v[20:21]
	v_mov_b32_e32 v32, s9
	v_add_co_u32_e32 v56, vcc, s8, v56
	v_addc_co_u32_e32 v57, vcc, v32, v57, vcc
	v_mul_i32_i24_e32 v20, 3, v62
	global_load_dwordx4 v[63:66], v[56:57], off offset:2688
	global_load_dwordx2 v[79:80], v[56:57], off offset:2704
	v_lshlrev_b64 v[56:57], 3, v[20:21]
	v_mul_i32_i24_e32 v20, 3, v61
	v_add_co_u32_e32 v56, vcc, s8, v56
	v_addc_co_u32_e32 v57, vcc, v32, v57, vcc
	global_load_dwordx4 v[67:70], v[56:57], off offset:2688
	global_load_dwordx2 v[81:82], v[56:57], off offset:2704
	v_lshlrev_b64 v[56:57], 3, v[20:21]
	v_mul_lo_u32 v61, s5, v3
	v_add_co_u32_e32 v56, vcc, s8, v56
	v_addc_co_u32_e32 v57, vcc, v32, v57, vcc
	global_load_dwordx4 v[71:74], v[56:57], off offset:2688
	v_mul_lo_u32 v4, s4, v4
	v_mad_u64_u32 v[83:84], s[0:1], s4, v3, 0
	global_load_dwordx2 v[56:57], v[56:57], off offset:2704
	v_mul_i32_i24_e32 v20, 3, v60
	v_add3_u32 v84, v84, v4, v61
	v_lshlrev_b64 v[3:4], 3, v[20:21]
	v_mul_i32_i24_e32 v20, 3, v59
	v_lshlrev_b64 v[75:76], 3, v[20:21]
	v_add_co_u32_e32 v3, vcc, s8, v3
	v_addc_co_u32_e32 v4, vcc, v32, v4, vcc
	global_load_dwordx2 v[85:86], v[3:4], off offset:2704
	global_load_dwordx4 v[59:62], v[3:4], off offset:2688
	v_add_co_u32_e32 v3, vcc, s8, v75
	v_addc_co_u32_e32 v4, vcc, v32, v76, vcc
	global_load_dwordx2 v[87:88], v[3:4], off offset:2704
	global_load_dwordx4 v[75:78], v[3:4], off offset:2688
	s_mov_b32 s1, 0x60f25deb
	v_lshlrev_b64 v[1:2], 3, v[1:2]
	s_movk_i32 s0, 0x152
	s_waitcnt vmcnt(9) lgkmcnt(3)
	v_mul_f32_e32 v3, v31, v65
	v_mul_f32_e32 v4, v29, v64
	s_waitcnt vmcnt(8) lgkmcnt(2)
	v_mul_f32_e32 v20, v27, v80
	v_mul_f32_e32 v31, v31, v66
	;; [unrolled: 1-line block ×4, first 2 shown]
	v_fmac_f32_e32 v3, v23, v66
	v_fma_f32 v25, v25, v63, -v4
	v_fma_f32 v4, v19, v79, -v20
	v_fma_f32 v19, v23, v65, -v31
	v_fmac_f32_e32 v32, v29, v63
	v_fmac_f32_e32 v64, v27, v79
	s_waitcnt vmcnt(7)
	v_mul_f32_e32 v23, v28, v68
	s_waitcnt vmcnt(6)
	v_mul_f32_e32 v27, v26, v82
	v_mul_f32_e32 v20, v30, v69
	;; [unrolled: 1-line block ×4, first 2 shown]
	s_waitcnt lgkmcnt(0)
	v_sub_f32_e32 v30, v33, v3
	v_sub_f32_e32 v31, v25, v4
	;; [unrolled: 1-line block ×4, first 2 shown]
	v_fma_f32 v65, v24, v67, -v23
	v_fma_f32 v23, v18, v81, -v27
	v_mul_f32_e32 v18, v18, v82
	v_fmac_f32_e32 v20, v22, v70
	v_fma_f32 v22, v22, v69, -v29
	v_fmac_f32_e32 v63, v28, v67
	v_sub_f32_e32 v3, v19, v64
	v_fma_f32 v24, v33, 2.0, -v30
	v_fma_f32 v27, v32, 2.0, -v64
	;; [unrolled: 1-line block ×4, first 2 shown]
	v_fmac_f32_e32 v18, v26, v81
	v_sub_f32_e32 v29, v55, v20
	v_sub_f32_e32 v32, v65, v23
	;; [unrolled: 1-line block ×3, first 2 shown]
	v_fma_f32 v22, v19, 2.0, -v3
	v_sub_f32_e32 v20, v24, v27
	v_sub_f32_e32 v19, v28, v25
	;; [unrolled: 1-line block ×3, first 2 shown]
	v_add_f32_e32 v27, v29, v32
	v_fma_f32 v25, v24, 2.0, -v20
	v_fma_f32 v24, v28, 2.0, -v19
	v_sub_f32_e32 v26, v64, v18
	v_fma_f32 v28, v55, 2.0, -v29
	v_fma_f32 v18, v63, 2.0, -v18
	v_add_f32_e32 v4, v30, v31
	v_fma_f32 v31, v29, 2.0, -v27
	v_sub_f32_e32 v29, v28, v18
	v_fma_f32 v33, v28, 2.0, -v29
	v_fma_f32 v18, v105, 2.0, -v64
	;; [unrolled: 1-line block ×3, first 2 shown]
	v_sub_f32_e32 v28, v18, v28
	v_fma_f32 v32, v18, 2.0, -v28
	s_waitcnt vmcnt(5)
	v_mul_f32_e32 v18, v17, v74
	v_fmac_f32_e32 v18, v45, v73
	v_sub_f32_e32 v55, v54, v18
	v_mul_f32_e32 v18, v41, v72
	v_fma_f32 v79, v13, v71, -v18
	v_mul_u32_u24_e32 v18, 3, v58
	v_lshlrev_b32_e32 v18, 3, v18
	v_fma_f32 v23, v30, 2.0, -v4
	v_fma_f32 v30, v64, 2.0, -v26
	global_load_dwordx2 v[67:68], v18, s[8:9] offset:2704
	global_load_dwordx4 v[63:66], v18, s[8:9] offset:2688
	s_waitcnt vmcnt(6)
	v_mul_f32_e32 v18, v43, v57
	v_fma_f32 v18, v15, v56, -v18
	v_mul_f32_e32 v13, v13, v72
	v_mul_f32_e32 v15, v15, v57
	;; [unrolled: 1-line block ×3, first 2 shown]
	v_fmac_f32_e32 v13, v41, v71
	v_fmac_f32_e32 v15, v43, v56
	v_sub_f32_e32 v80, v79, v18
	v_fma_f32 v17, v17, v73, -v45
	v_sub_f32_e32 v15, v13, v15
	v_add_f32_e32 v18, v55, v80
	v_sub_f32_e32 v45, v104, v17
	v_fma_f32 v41, v54, 2.0, -v55
	v_fma_f32 v13, v13, 2.0, -v15
	;; [unrolled: 1-line block ×3, first 2 shown]
	v_sub_f32_e32 v17, v45, v15
	v_sub_f32_e32 v55, v41, v13
	v_fma_f32 v13, v104, 2.0, -v45
	v_fma_f32 v15, v79, 2.0, -v80
	v_sub_f32_e32 v54, v13, v15
	v_fma_f32 v56, v13, 2.0, -v54
	s_waitcnt vmcnt(4)
	v_mul_f32_e32 v13, v16, v62
	v_fmac_f32_e32 v13, v44, v61
	v_fma_f32 v57, v41, 2.0, -v55
	v_sub_f32_e32 v41, v53, v13
	v_mul_f32_e32 v13, v40, v60
	v_mul_f32_e32 v43, v44, v62
	v_fma_f32 v69, v45, 2.0, -v17
	v_fma_f32 v45, v12, v59, -v13
	v_mul_f32_e32 v13, v42, v86
	v_fma_f32 v16, v16, v61, -v43
	v_mul_f32_e32 v43, v12, v60
	v_mul_f32_e32 v12, v14, v86
	v_fma_f32 v13, v14, v85, -v13
	v_fmac_f32_e32 v43, v40, v59
	v_fmac_f32_e32 v12, v42, v85
	v_sub_f32_e32 v71, v45, v13
	v_sub_f32_e32 v16, v102, v16
	;; [unrolled: 1-line block ×3, first 2 shown]
	v_add_f32_e32 v13, v41, v71
	v_sub_f32_e32 v12, v16, v40
	v_fma_f32 v42, v53, 2.0, -v41
	v_fma_f32 v40, v43, 2.0, -v40
	;; [unrolled: 1-line block ×4, first 2 shown]
	v_sub_f32_e32 v41, v42, v40
	v_fma_f32 v16, v102, 2.0, -v16
	v_fma_f32 v40, v45, 2.0, -v71
	v_sub_f32_e32 v40, v16, v40
	s_waitcnt vmcnt(2)
	v_mul_f32_e32 v44, v37, v76
	v_fma_f32 v43, v42, 2.0, -v41
	v_fma_f32 v42, v16, 2.0, -v40
	v_mul_f32_e32 v16, v11, v78
	v_fma_f32 v61, v9, v75, -v44
	v_mul_f32_e32 v44, v35, v88
	v_fmac_f32_e32 v16, v39, v77
	v_fma_f32 v44, v7, v87, -v44
	v_mul_f32_e32 v39, v39, v78
	v_mul_f32_e32 v9, v9, v76
	;; [unrolled: 1-line block ×3, first 2 shown]
	v_sub_f32_e32 v16, v52, v16
	v_sub_f32_e32 v71, v61, v44
	v_fma_f32 v11, v11, v77, -v39
	v_fmac_f32_e32 v9, v37, v75
	v_fmac_f32_e32 v7, v35, v87
	v_add_f32_e32 v45, v16, v71
	v_sub_f32_e32 v11, v101, v11
	v_sub_f32_e32 v7, v9, v7
	v_fma_f32 v60, v16, 2.0, -v45
	v_sub_f32_e32 v44, v11, v7
	v_fma_f32 v16, v52, 2.0, -v16
	v_fma_f32 v7, v9, 2.0, -v7
	v_sub_f32_e32 v53, v16, v7
	v_fma_f32 v7, v101, 2.0, -v11
	;; [unrolled: 3-line block ×3, first 2 shown]
	v_fma_f32 v59, v11, 2.0, -v44
	v_fma_f32 v62, v16, 2.0, -v53
	s_waitcnt vmcnt(0)
	v_mul_f32_e32 v7, v10, v66
	v_fmac_f32_e32 v7, v38, v65
	v_mul_f32_e32 v35, v38, v66
	v_sub_f32_e32 v11, v51, v7
	v_mul_f32_e32 v7, v36, v64
	v_fma_f32 v10, v10, v65, -v35
	v_mul_f32_e32 v35, v8, v64
	v_fma_f32 v16, v8, v63, -v7
	v_mul_f32_e32 v7, v34, v68
	v_fmac_f32_e32 v35, v36, v63
	v_mul_hi_u32 v36, v58, s1
	v_fma_f32 v7, v6, v67, -v7
	v_mul_f32_e32 v6, v6, v68
	v_sub_f32_e32 v39, v16, v7
	v_fmac_f32_e32 v6, v34, v67
	v_add_f32_e32 v7, v11, v39
	v_sub_f32_e32 v10, v98, v10
	v_sub_f32_e32 v34, v35, v6
	v_fma_f32 v9, v11, 2.0, -v7
	v_sub_f32_e32 v6, v10, v34
	v_fma_f32 v37, v51, 2.0, -v11
	v_fma_f32 v11, v35, 2.0, -v34
	v_lshrrev_b32_e32 v34, 7, v36
	v_mul_u32_u24_e32 v34, 0x152, v34
	v_sub_u32_e32 v51, v58, v34
	v_mad_u64_u32 v[34:35], s[2:3], s20, v51, 0
	v_fma_f32 v8, v10, 2.0, -v6
	v_sub_f32_e32 v11, v37, v11
	v_fma_f32 v38, v98, 2.0, -v10
	v_fma_f32 v16, v16, 2.0, -v39
	v_mov_b32_e32 v10, v35
	v_mad_u64_u32 v[35:36], s[2:3], s21, v51, v[10:11]
	v_sub_f32_e32 v10, v38, v16
	v_fma_f32 v36, v38, 2.0, -v10
	v_lshlrev_b64 v[38:39], 3, v[83:84]
	v_mov_b32_e32 v16, s15
	v_add_co_u32_e32 v38, vcc, s14, v38
	v_addc_co_u32_e32 v16, vcc, v16, v39, vcc
	v_add_u32_e32 v63, 0x152, v51
	v_add_co_u32_e32 v1, vcc, v38, v1
	v_mad_u64_u32 v[38:39], s[2:3], s20, v63, 0
	v_addc_co_u32_e32 v2, vcc, v16, v2, vcc
	v_mov_b32_e32 v16, v39
	v_mad_u64_u32 v[63:64], s[2:3], s21, v63, v[16:17]
	v_add_u32_e32 v66, 0x2a4, v51
	v_mad_u64_u32 v[64:65], s[2:3], s20, v66, 0
	v_lshlrev_b64 v[34:35], 3, v[34:35]
	v_fma_f32 v37, v37, 2.0, -v11
	v_add_co_u32_e32 v34, vcc, v1, v34
	v_addc_co_u32_e32 v35, vcc, v2, v35, vcc
	v_mov_b32_e32 v16, v65
	global_store_dwordx2 v[34:35], v[36:37], off
	v_mov_b32_e32 v39, v63
	v_mad_u64_u32 v[36:37], s[2:3], s21, v66, v[16:17]
	v_lshlrev_b64 v[34:35], 3, v[38:39]
	v_add_u32_e32 v37, 52, v58
	v_add_co_u32_e32 v34, vcc, v1, v34
	v_addc_co_u32_e32 v35, vcc, v2, v35, vcc
	v_mov_b32_e32 v65, v36
	v_add_u32_e32 v36, 0x3f6, v51
	global_store_dwordx2 v[34:35], v[8:9], off
	v_mad_u64_u32 v[34:35], s[2:3], s20, v36, 0
	v_mul_hi_u32 v38, v37, s1
	v_lshlrev_b64 v[8:9], 3, v[64:65]
	v_mov_b32_e32 v16, v35
	v_mad_u64_u32 v[35:36], s[2:3], s21, v36, v[16:17]
	v_lshrrev_b32_e32 v16, 7, v38
	v_mul_u32_u24_e32 v36, 0x152, v16
	v_sub_u32_e32 v36, v37, v36
	s_movk_i32 s2, 0x548
	v_mad_u32_u24 v16, v16, s2, v36
	v_mad_u64_u32 v[36:37], s[4:5], s20, v16, 0
	v_add_co_u32_e32 v8, vcc, v1, v8
	v_addc_co_u32_e32 v9, vcc, v2, v9, vcc
	global_store_dwordx2 v[8:9], v[10:11], off
	v_mov_b32_e32 v10, v37
	v_mad_u64_u32 v[10:11], s[4:5], s21, v16, v[10:11]
	v_lshlrev_b64 v[8:9], 3, v[34:35]
	v_add_u32_e32 v34, 0x2a4, v16
	v_add_co_u32_e32 v8, vcc, v1, v8
	v_addc_co_u32_e32 v9, vcc, v2, v9, vcc
	v_mov_b32_e32 v37, v10
	v_add_u32_e32 v10, 0x152, v16
	global_store_dwordx2 v[8:9], v[6:7], off
	v_mad_u64_u32 v[8:9], s[4:5], s20, v10, 0
	v_lshlrev_b64 v[6:7], 3, v[36:37]
	v_mad_u64_u32 v[9:10], s[4:5], s21, v10, v[9:10]
	v_mad_u64_u32 v[10:11], s[4:5], s20, v34, 0
	v_add_co_u32_e32 v6, vcc, v1, v6
	v_addc_co_u32_e32 v7, vcc, v2, v7, vcc
	global_store_dwordx2 v[6:7], v[61:62], off
	v_lshlrev_b64 v[6:7], 3, v[8:9]
	v_mov_b32_e32 v8, v11
	v_mad_u64_u32 v[8:9], s[4:5], s21, v34, v[8:9]
	v_add_co_u32_e32 v6, vcc, v1, v6
	v_addc_co_u32_e32 v7, vcc, v2, v7, vcc
	v_mov_b32_e32 v11, v8
	global_store_dwordx2 v[6:7], v[59:60], off
	v_lshlrev_b64 v[6:7], 3, v[10:11]
	v_add_u32_e32 v10, 0x3f6, v16
	v_mad_u64_u32 v[8:9], s[4:5], s20, v10, 0
	v_add_u32_e32 v11, 0x68, v58
	v_mul_hi_u32 v16, v11, s1
	v_mad_u64_u32 v[9:10], s[4:5], s21, v10, v[9:10]
	v_add_co_u32_e32 v6, vcc, v1, v6
	v_lshrrev_b32_e32 v10, 7, v16
	v_mul_u32_u24_e32 v16, 0x152, v10
	v_sub_u32_e32 v11, v11, v16
	v_mad_u32_u24 v16, v10, s2, v11
	v_mad_u64_u32 v[10:11], s[4:5], s20, v16, 0
	v_addc_co_u32_e32 v7, vcc, v2, v7, vcc
	global_store_dwordx2 v[6:7], v[52:53], off
	v_lshlrev_b64 v[6:7], 3, v[8:9]
	v_mov_b32_e32 v8, v11
	v_mad_u64_u32 v[8:9], s[4:5], s21, v16, v[8:9]
	v_add_co_u32_e32 v6, vcc, v1, v6
	v_addc_co_u32_e32 v7, vcc, v2, v7, vcc
	v_mov_b32_e32 v11, v8
	global_store_dwordx2 v[6:7], v[44:45], off
	v_lshlrev_b64 v[6:7], 3, v[10:11]
	v_add_u32_e32 v10, 0x152, v16
	v_mad_u64_u32 v[8:9], s[4:5], s20, v10, 0
	v_add_u32_e32 v34, 0x2a4, v16
	v_add_co_u32_e32 v6, vcc, v1, v6
	v_mad_u64_u32 v[9:10], s[4:5], s21, v10, v[9:10]
	v_mad_u64_u32 v[10:11], s[4:5], s20, v34, 0
	v_addc_co_u32_e32 v7, vcc, v2, v7, vcc
	global_store_dwordx2 v[6:7], v[42:43], off
	v_lshlrev_b64 v[6:7], 3, v[8:9]
	v_mov_b32_e32 v8, v11
	v_mad_u64_u32 v[8:9], s[4:5], s21, v34, v[8:9]
	v_add_co_u32_e32 v6, vcc, v1, v6
	v_addc_co_u32_e32 v7, vcc, v2, v7, vcc
	v_mov_b32_e32 v11, v8
	global_store_dwordx2 v[6:7], v[14:15], off
	v_lshlrev_b64 v[6:7], 3, v[10:11]
	v_add_u32_e32 v10, 0x3f6, v16
	v_mad_u64_u32 v[8:9], s[4:5], s20, v10, 0
	v_add_u32_e32 v11, 0x9c, v58
	v_mul_hi_u32 v14, v11, s1
	v_mad_u64_u32 v[9:10], s[4:5], s21, v10, v[9:10]
	v_add_co_u32_e32 v6, vcc, v1, v6
	v_lshrrev_b32_e32 v10, 7, v14
	v_mul_u32_u24_e32 v14, 0x152, v10
	v_sub_u32_e32 v11, v11, v14
	v_mad_u32_u24 v14, v10, s2, v11
	v_mad_u64_u32 v[10:11], s[4:5], s20, v14, 0
	v_addc_co_u32_e32 v7, vcc, v2, v7, vcc
	global_store_dwordx2 v[6:7], v[40:41], off
	v_lshlrev_b64 v[6:7], 3, v[8:9]
	v_mov_b32_e32 v8, v11
	v_mad_u64_u32 v[8:9], s[4:5], s21, v14, v[8:9]
	v_add_co_u32_e32 v6, vcc, v1, v6
	v_addc_co_u32_e32 v7, vcc, v2, v7, vcc
	v_mov_b32_e32 v11, v8
	global_store_dwordx2 v[6:7], v[12:13], off
	v_lshlrev_b64 v[6:7], 3, v[10:11]
	v_add_u32_e32 v10, 0x152, v14
	v_mad_u64_u32 v[8:9], s[4:5], s20, v10, 0
	v_add_u32_e32 v12, 0x2a4, v14
	v_add_co_u32_e32 v6, vcc, v1, v6
	v_mad_u64_u32 v[9:10], s[4:5], s21, v10, v[9:10]
	v_mad_u64_u32 v[10:11], s[4:5], s20, v12, 0
	;; [unrolled: 37-line block ×3, first 2 shown]
	v_addc_co_u32_e32 v7, vcc, v2, v7, vcc
	global_store_dwordx2 v[6:7], v[32:33], off
	v_lshlrev_b64 v[6:7], 3, v[8:9]
	v_mov_b32_e32 v8, v11
	v_mad_u64_u32 v[8:9], s[4:5], s21, v13, v[8:9]
	v_add_co_u32_e32 v6, vcc, v1, v6
	v_addc_co_u32_e32 v7, vcc, v2, v7, vcc
	v_mov_b32_e32 v11, v8
	global_store_dwordx2 v[6:7], v[30:31], off
	v_lshlrev_b64 v[6:7], 3, v[10:11]
	v_add_u32_e32 v10, 0x3f6, v12
	v_mad_u64_u32 v[8:9], s[4:5], s20, v10, 0
	v_add_co_u32_e32 v6, vcc, v1, v6
	v_mad_u64_u32 v[9:10], s[4:5], s21, v10, v[9:10]
	v_add_u32_e32 v10, 0x104, v58
	v_mul_hi_u32 v11, v10, s1
	v_addc_co_u32_e32 v7, vcc, v2, v7, vcc
	global_store_dwordx2 v[6:7], v[28:29], off
	v_lshlrev_b64 v[6:7], 3, v[8:9]
	v_lshrrev_b32_e32 v8, 7, v11
	v_mul_u32_u24_e32 v9, 0x152, v8
	v_sub_u32_e32 v9, v10, v9
	v_mad_u32_u24 v12, v8, s2, v9
	v_mad_u64_u32 v[8:9], s[2:3], s20, v12, 0
	v_add_u32_e32 v13, 0x152, v12
	v_add_co_u32_e32 v6, vcc, v1, v6
	v_mad_u64_u32 v[9:10], s[2:3], s21, v12, v[9:10]
	v_mad_u64_u32 v[10:11], s[2:3], s20, v13, 0
	v_addc_co_u32_e32 v7, vcc, v2, v7, vcc
	global_store_dwordx2 v[6:7], v[26:27], off
	v_lshlrev_b64 v[6:7], 3, v[8:9]
	v_mov_b32_e32 v8, v11
	v_mad_u64_u32 v[8:9], s[2:3], s21, v13, v[8:9]
	v_add_co_u32_e32 v6, vcc, v1, v6
	v_addc_co_u32_e32 v7, vcc, v2, v7, vcc
	v_mov_b32_e32 v11, v8
	global_store_dwordx2 v[6:7], v[24:25], off
	v_lshlrev_b64 v[6:7], 3, v[10:11]
	v_add_u32_e32 v10, 0x2a4, v12
	v_mad_u64_u32 v[8:9], s[2:3], s20, v10, 0
	v_add_u32_e32 v12, 0x3f6, v12
	v_add_co_u32_e32 v6, vcc, v1, v6
	v_mad_u64_u32 v[9:10], s[2:3], s21, v10, v[9:10]
	v_mad_u64_u32 v[10:11], s[2:3], s20, v12, 0
	v_addc_co_u32_e32 v7, vcc, v2, v7, vcc
	global_store_dwordx2 v[6:7], v[22:23], off
	v_lshlrev_b64 v[6:7], 3, v[8:9]
	v_mov_b32_e32 v8, v11
	v_mad_u64_u32 v[8:9], s[2:3], s21, v12, v[8:9]
	v_add_co_u32_e32 v6, vcc, v1, v6
	v_addc_co_u32_e32 v7, vcc, v2, v7, vcc
	v_mov_b32_e32 v11, v8
	global_store_dwordx2 v[6:7], v[19:20], off
	v_lshlrev_b64 v[6:7], 3, v[10:11]
	v_add_co_u32_e32 v6, vcc, v1, v6
	v_addc_co_u32_e32 v7, vcc, v2, v7, vcc
	global_store_dwordx2 v[6:7], v[3:4], off
	v_add_u32_e32 v3, 0x138, v58
	v_cmp_gt_u32_e32 vcc, s0, v3
	s_and_b64 exec, exec, vcc
	s_cbranch_execz .LBB0_20
; %bb.19:
	v_mul_i32_i24_e32 v20, 3, v46
	v_lshlrev_b64 v[6:7], 3, v[20:21]
	v_mov_b32_e32 v4, s9
	v_add_co_u32_e32 v10, vcc, s8, v6
	v_addc_co_u32_e32 v11, vcc, v4, v7, vcc
	global_load_dwordx4 v[6:9], v[10:11], off offset:2688
	global_load_dwordx2 v[12:13], v[10:11], off offset:2704
	v_mad_u64_u32 v[10:11], s[0:1], s20, v3, 0
	v_add_u32_e32 v20, 0x28a, v58
	v_add_u32_e32 v22, 0x52e, v58
	v_mad_u64_u32 v[14:15], s[0:1], s20, v20, 0
	v_add_u32_e32 v21, 0x3dc, v58
	v_mad_u64_u32 v[18:19], s[0:1], s20, v22, 0
	v_mad_u64_u32 v[16:17], s[0:1], s20, v21, 0
	v_mov_b32_e32 v4, v11
	v_mad_u64_u32 v[3:4], s[0:1], s21, v3, v[4:5]
	v_mov_b32_e32 v4, v15
	v_mov_b32_e32 v15, v19
	v_mad_u64_u32 v[19:20], s[0:1], s21, v20, v[4:5]
	v_mov_b32_e32 v11, v17
	s_waitcnt vmcnt(0)
	v_mad_u64_u32 v[20:21], s[0:1], s21, v21, v[11:12]
	v_mov_b32_e32 v11, v3
	v_lshlrev_b64 v[3:4], 3, v[10:11]
	v_mad_u64_u32 v[21:22], s[0:1], s21, v22, v[15:16]
	v_mov_b32_e32 v15, v19
	v_lshlrev_b64 v[10:11], 3, v[14:15]
	v_add_co_u32_e32 v3, vcc, v1, v3
	v_mov_b32_e32 v17, v20
	v_addc_co_u32_e32 v4, vcc, v2, v4, vcc
	v_lshlrev_b64 v[14:15], 3, v[16:17]
	v_add_co_u32_e32 v10, vcc, v1, v10
	v_mov_b32_e32 v19, v21
	v_addc_co_u32_e32 v11, vcc, v2, v11, vcc
	v_lshlrev_b64 v[16:17], 3, v[18:19]
	v_add_co_u32_e32 v14, vcc, v1, v14
	v_addc_co_u32_e32 v15, vcc, v2, v15, vcc
	v_add_co_u32_e32 v1, vcc, v1, v16
	v_addc_co_u32_e32 v2, vcc, v2, v17, vcc
	v_mul_f32_e32 v16, v49, v7
	v_mul_f32_e32 v7, v48, v7
	;; [unrolled: 1-line block ×6, first 2 shown]
	v_fma_f32 v16, v48, v6, -v16
	v_fmac_f32_e32 v7, v49, v6
	v_fma_f32 v6, v96, v8, -v17
	v_fmac_f32_e32 v9, v0, v8
	;; [unrolled: 2-line block ×3, first 2 shown]
	v_sub_f32_e32 v12, v47, v6
	v_sub_f32_e32 v9, v5, v9
	;; [unrolled: 1-line block ×4, first 2 shown]
	v_fma_f32 v17, v47, 2.0, -v12
	v_fma_f32 v18, v5, 2.0, -v9
	;; [unrolled: 1-line block ×4, first 2 shown]
	v_sub_f32_e32 v7, v17, v8
	v_sub_f32_e32 v8, v18, v13
	;; [unrolled: 1-line block ×3, first 2 shown]
	v_add_f32_e32 v6, v9, v0
	v_fma_f32 v16, v17, 2.0, -v7
	v_fma_f32 v17, v18, 2.0, -v8
	v_fma_f32 v12, v12, 2.0, -v5
	v_fma_f32 v13, v9, 2.0, -v6
	global_store_dwordx2 v[3:4], v[16:17], off
	global_store_dwordx2 v[10:11], v[12:13], off
	;; [unrolled: 1-line block ×4, first 2 shown]
.LBB0_20:
	s_endpgm
	.section	.rodata,"a",@progbits
	.p2align	6, 0x0
	.amdhsa_kernel fft_rtc_fwd_len1352_factors_2_13_13_4_wgs_52_tpt_52_halfLds_sp_op_CI_CI_sbrr_dirReg
		.amdhsa_group_segment_fixed_size 0
		.amdhsa_private_segment_fixed_size 0
		.amdhsa_kernarg_size 104
		.amdhsa_user_sgpr_count 6
		.amdhsa_user_sgpr_private_segment_buffer 1
		.amdhsa_user_sgpr_dispatch_ptr 0
		.amdhsa_user_sgpr_queue_ptr 0
		.amdhsa_user_sgpr_kernarg_segment_ptr 1
		.amdhsa_user_sgpr_dispatch_id 0
		.amdhsa_user_sgpr_flat_scratch_init 0
		.amdhsa_user_sgpr_private_segment_size 0
		.amdhsa_uses_dynamic_stack 0
		.amdhsa_system_sgpr_private_segment_wavefront_offset 0
		.amdhsa_system_sgpr_workgroup_id_x 1
		.amdhsa_system_sgpr_workgroup_id_y 0
		.amdhsa_system_sgpr_workgroup_id_z 0
		.amdhsa_system_sgpr_workgroup_info 0
		.amdhsa_system_vgpr_workitem_id 0
		.amdhsa_next_free_vgpr 138
		.amdhsa_next_free_sgpr 32
		.amdhsa_reserve_vcc 1
		.amdhsa_reserve_flat_scratch 0
		.amdhsa_float_round_mode_32 0
		.amdhsa_float_round_mode_16_64 0
		.amdhsa_float_denorm_mode_32 3
		.amdhsa_float_denorm_mode_16_64 3
		.amdhsa_dx10_clamp 1
		.amdhsa_ieee_mode 1
		.amdhsa_fp16_overflow 0
		.amdhsa_exception_fp_ieee_invalid_op 0
		.amdhsa_exception_fp_denorm_src 0
		.amdhsa_exception_fp_ieee_div_zero 0
		.amdhsa_exception_fp_ieee_overflow 0
		.amdhsa_exception_fp_ieee_underflow 0
		.amdhsa_exception_fp_ieee_inexact 0
		.amdhsa_exception_int_div_zero 0
	.end_amdhsa_kernel
	.text
.Lfunc_end0:
	.size	fft_rtc_fwd_len1352_factors_2_13_13_4_wgs_52_tpt_52_halfLds_sp_op_CI_CI_sbrr_dirReg, .Lfunc_end0-fft_rtc_fwd_len1352_factors_2_13_13_4_wgs_52_tpt_52_halfLds_sp_op_CI_CI_sbrr_dirReg
                                        ; -- End function
	.section	.AMDGPU.csdata,"",@progbits
; Kernel info:
; codeLenInByte = 20476
; NumSgprs: 36
; NumVgprs: 138
; ScratchSize: 0
; MemoryBound: 0
; FloatMode: 240
; IeeeMode: 1
; LDSByteSize: 0 bytes/workgroup (compile time only)
; SGPRBlocks: 4
; VGPRBlocks: 34
; NumSGPRsForWavesPerEU: 36
; NumVGPRsForWavesPerEU: 138
; Occupancy: 1
; WaveLimiterHint : 1
; COMPUTE_PGM_RSRC2:SCRATCH_EN: 0
; COMPUTE_PGM_RSRC2:USER_SGPR: 6
; COMPUTE_PGM_RSRC2:TRAP_HANDLER: 0
; COMPUTE_PGM_RSRC2:TGID_X_EN: 1
; COMPUTE_PGM_RSRC2:TGID_Y_EN: 0
; COMPUTE_PGM_RSRC2:TGID_Z_EN: 0
; COMPUTE_PGM_RSRC2:TIDIG_COMP_CNT: 0
	.type	__hip_cuid_8d5fb8c800f3f3ec,@object ; @__hip_cuid_8d5fb8c800f3f3ec
	.section	.bss,"aw",@nobits
	.globl	__hip_cuid_8d5fb8c800f3f3ec
__hip_cuid_8d5fb8c800f3f3ec:
	.byte	0                               ; 0x0
	.size	__hip_cuid_8d5fb8c800f3f3ec, 1

	.ident	"AMD clang version 19.0.0git (https://github.com/RadeonOpenCompute/llvm-project roc-6.4.0 25133 c7fe45cf4b819c5991fe208aaa96edf142730f1d)"
	.section	".note.GNU-stack","",@progbits
	.addrsig
	.addrsig_sym __hip_cuid_8d5fb8c800f3f3ec
	.amdgpu_metadata
---
amdhsa.kernels:
  - .args:
      - .actual_access:  read_only
        .address_space:  global
        .offset:         0
        .size:           8
        .value_kind:     global_buffer
      - .offset:         8
        .size:           8
        .value_kind:     by_value
      - .actual_access:  read_only
        .address_space:  global
        .offset:         16
        .size:           8
        .value_kind:     global_buffer
      - .actual_access:  read_only
        .address_space:  global
        .offset:         24
        .size:           8
        .value_kind:     global_buffer
      - .actual_access:  read_only
        .address_space:  global
        .offset:         32
        .size:           8
        .value_kind:     global_buffer
      - .offset:         40
        .size:           8
        .value_kind:     by_value
      - .actual_access:  read_only
        .address_space:  global
        .offset:         48
        .size:           8
        .value_kind:     global_buffer
      - .actual_access:  read_only
        .address_space:  global
        .offset:         56
        .size:           8
        .value_kind:     global_buffer
      - .offset:         64
        .size:           4
        .value_kind:     by_value
      - .actual_access:  read_only
        .address_space:  global
        .offset:         72
        .size:           8
        .value_kind:     global_buffer
      - .actual_access:  read_only
        .address_space:  global
        .offset:         80
        .size:           8
        .value_kind:     global_buffer
      - .actual_access:  read_only
        .address_space:  global
        .offset:         88
        .size:           8
        .value_kind:     global_buffer
      - .actual_access:  write_only
        .address_space:  global
        .offset:         96
        .size:           8
        .value_kind:     global_buffer
    .group_segment_fixed_size: 0
    .kernarg_segment_align: 8
    .kernarg_segment_size: 104
    .language:       OpenCL C
    .language_version:
      - 2
      - 0
    .max_flat_workgroup_size: 52
    .name:           fft_rtc_fwd_len1352_factors_2_13_13_4_wgs_52_tpt_52_halfLds_sp_op_CI_CI_sbrr_dirReg
    .private_segment_fixed_size: 0
    .sgpr_count:     36
    .sgpr_spill_count: 0
    .symbol:         fft_rtc_fwd_len1352_factors_2_13_13_4_wgs_52_tpt_52_halfLds_sp_op_CI_CI_sbrr_dirReg.kd
    .uniform_work_group_size: 1
    .uses_dynamic_stack: false
    .vgpr_count:     138
    .vgpr_spill_count: 0
    .wavefront_size: 64
amdhsa.target:   amdgcn-amd-amdhsa--gfx906
amdhsa.version:
  - 1
  - 2
...

	.end_amdgpu_metadata
